;; amdgpu-corpus repo=ROCm/rocFFT kind=compiled arch=gfx1201 opt=O3
	.text
	.amdgcn_target "amdgcn-amd-amdhsa--gfx1201"
	.amdhsa_code_object_version 6
	.protected	bluestein_single_back_len121_dim1_dp_op_CI_CI ; -- Begin function bluestein_single_back_len121_dim1_dp_op_CI_CI
	.globl	bluestein_single_back_len121_dim1_dp_op_CI_CI
	.p2align	8
	.type	bluestein_single_back_len121_dim1_dp_op_CI_CI,@function
bluestein_single_back_len121_dim1_dp_op_CI_CI: ; @bluestein_single_back_len121_dim1_dp_op_CI_CI
; %bb.0:
	s_load_b128 s[16:19], s[0:1], 0x28
	v_mul_u32_u24_e32 v1, 0x1746, v0
	s_mov_b32 s2, exec_lo
	s_delay_alu instid0(VALU_DEP_1) | instskip(NEXT) | instid1(VALU_DEP_1)
	v_lshrrev_b32_e32 v1, 16, v1
	v_mad_co_u64_u32 v[100:101], null, ttmp9, 11, v[1:2]
	v_mov_b32_e32 v101, 0
	s_wait_kmcnt 0x0
	s_delay_alu instid0(VALU_DEP_1)
	v_cmpx_gt_u64_e64 s[16:17], v[100:101]
	s_cbranch_execz .LBB0_2
; %bb.1:
	s_clause 0x1
	s_load_b128 s[4:7], s[0:1], 0x18
	s_load_b128 s[8:11], s[0:1], 0x0
	v_mul_lo_u16 v1, v1, 11
	s_mov_b32 s22, 0xf8bb580b
	s_mov_b32 s28, 0x8eee2c13
	;; [unrolled: 1-line block ×4, first 2 shown]
	v_sub_nc_u16 v56, v0, v1
	s_mov_b32 s24, 0xfd768dbf
	s_mov_b32 s23, 0xbfe14ced
	;; [unrolled: 1-line block ×4, first 2 shown]
	v_and_b32_e32 v125, 0xffff, v56
	s_mov_b32 s21, 0xbfe82f19
	s_mov_b32 s25, 0xbfd207e7
	;; [unrolled: 1-line block ×4, first 2 shown]
	v_lshlrev_b32_e32 v255, 4, v125
	s_mov_b32 s31, 0x3fd207e7
	s_mov_b32 s30, s24
	s_wait_kmcnt 0x0
	s_load_b128 s[12:15], s[4:5], 0x0
	s_mov_b32 s35, 0x3fefac9e
	s_mov_b32 s34, s26
	;; [unrolled: 1-line block ×6, first 2 shown]
	s_load_b64 s[0:1], s[0:1], 0x38
	s_wait_kmcnt 0x0
	v_mad_co_u64_u32 v[0:1], null, s14, v100, 0
	v_mad_co_u64_u32 v[2:3], null, s12, v125, 0
	s_mul_u64 s[2:3], s[12:13], 0xb0
	s_delay_alu instid0(VALU_DEP_1) | instskip(SKIP_2) | instid1(VALU_DEP_1)
	v_mad_co_u64_u32 v[4:5], null, s15, v100, v[1:2]
	s_mov_b32 s14, 0x640f44db
	s_mov_b32 s15, 0xbfc2375f
	v_mad_co_u64_u32 v[5:6], null, s13, v125, v[3:4]
	v_mov_b32_e32 v1, v4
	s_mov_b32 s12, 0x7f775887
	s_mov_b32 s13, 0xbfe4f49e
	s_delay_alu instid0(VALU_DEP_1) | instskip(NEXT) | instid1(VALU_DEP_3)
	v_lshlrev_b64_e32 v[0:1], 4, v[0:1]
	v_mov_b32_e32 v3, v5
	s_delay_alu instid0(VALU_DEP_2) | instskip(NEXT) | instid1(VALU_DEP_2)
	v_add_co_u32 v0, vcc_lo, s18, v0
	v_lshlrev_b64_e32 v[2:3], 4, v[2:3]
	s_delay_alu instid0(VALU_DEP_4) | instskip(SKIP_2) | instid1(VALU_DEP_2)
	v_add_co_ci_u32_e32 v1, vcc_lo, s19, v1, vcc_lo
	s_mov_b32 s18, 0x8764f0ba
	s_mov_b32 s19, 0x3feaeb8c
	v_add_co_u32 v0, vcc_lo, v0, v2
	s_wait_alu 0xfffd
	v_add_co_ci_u32_e32 v1, vcc_lo, v1, v3, vcc_lo
	s_delay_alu instid0(VALU_DEP_2) | instskip(SKIP_1) | instid1(VALU_DEP_2)
	v_add_co_u32 v4, vcc_lo, v0, s2
	s_wait_alu 0xfffd
	v_add_co_ci_u32_e32 v5, vcc_lo, s3, v1, vcc_lo
	global_load_b128 v[12:15], v[0:1], off
	s_clause 0x1
	global_load_b128 v[6:9], v255, s[8:9]
	global_load_b128 v[34:37], v255, s[8:9] offset:176
	global_load_b128 v[16:19], v[4:5], off
	v_add_co_u32 v24, vcc_lo, v4, s2
	s_wait_alu 0xfffd
	v_add_co_ci_u32_e32 v25, vcc_lo, s3, v5, vcc_lo
	global_load_b128 v[20:23], v[24:25], off
	global_load_b128 v[0:3], v255, s[8:9] offset:352
	v_add_co_u32 v24, vcc_lo, v24, s2
	s_wait_alu 0xfffd
	v_add_co_ci_u32_e32 v25, vcc_lo, s3, v25, vcc_lo
	s_wait_loadcnt 0x4
	scratch_store_b128 off, v[6:9], off     ; 16-byte Folded Spill
	v_mul_f64_e32 v[26:27], v[14:15], v[8:9]
	s_wait_loadcnt 0x2
	v_mul_f64_e32 v[30:31], v[18:19], v[36:37]
	v_mul_f64_e32 v[28:29], v[12:13], v[8:9]
	;; [unrolled: 1-line block ×3, first 2 shown]
	s_wait_loadcnt 0x0
	scratch_store_b128 off, v[0:3], off offset:16 ; 16-byte Folded Spill
	v_fma_f64 v[44:45], v[12:13], v[6:7], v[26:27]
	v_fma_f64 v[48:49], v[16:17], v[34:35], v[30:31]
	v_mul_f64_e32 v[16:17], v[20:21], v[2:3]
	v_fma_f64 v[46:47], v[14:15], v[6:7], -v[28:29]
	global_load_b128 v[4:7], v255, s[8:9] offset:528
	v_fma_f64 v[50:51], v[18:19], v[34:35], -v[32:33]
	v_mul_f64_e32 v[26:27], v[22:23], v[2:3]
	v_add_co_u32 v28, vcc_lo, v24, s2
	s_wait_alu 0xfffd
	v_add_co_ci_u32_e32 v29, vcc_lo, s3, v25, vcc_lo
	scratch_store_b128 off, v[34:37], off offset:32 ; 16-byte Folded Spill
	v_fma_f64 v[54:55], v[22:23], v[0:1], -v[16:17]
	global_load_b128 v[16:19], v[24:25], off
	v_fma_f64 v[52:53], v[20:21], v[0:1], v[26:27]
	global_load_b128 v[24:27], v[28:29], off
	v_add_co_u32 v28, vcc_lo, v28, s2
	s_wait_alu 0xfffd
	v_add_co_ci_u32_e32 v29, vcc_lo, s3, v29, vcc_lo
	v_mul_hi_u32 v0, 0xba2e8ba3, v100
	s_delay_alu instid0(VALU_DEP_3) | instskip(SKIP_1) | instid1(VALU_DEP_3)
	v_add_co_u32 v36, vcc_lo, v28, s2
	s_wait_alu 0xfffd
	v_add_co_ci_u32_e32 v37, vcc_lo, s3, v29, vcc_lo
	s_delay_alu instid0(VALU_DEP_3) | instskip(NEXT) | instid1(VALU_DEP_1)
	v_lshrrev_b32_e32 v0, 3, v0
	v_mul_lo_u32 v0, v0, 11
	s_delay_alu instid0(VALU_DEP_1) | instskip(NEXT) | instid1(VALU_DEP_1)
	v_sub_nc_u32_e32 v0, v100, v0
	v_mul_u32_u24_e32 v0, 0x79, v0
	s_delay_alu instid0(VALU_DEP_1) | instskip(SKIP_1) | instid1(VALU_DEP_2)
	v_lshlrev_b32_e32 v57, 4, v0
	v_mul_lo_u16 v0, v56, 11
	v_add_nc_u32_e32 v126, v255, v57
	s_delay_alu instid0(VALU_DEP_2)
	v_and_b32_e32 v0, 0xffff, v0
	s_wait_loadcnt 0x2
	scratch_store_b128 off, v[4:7], off offset:48 ; 16-byte Folded Spill
	s_wait_loadcnt 0x1
	v_mul_f64_e32 v[20:21], v[18:19], v[6:7]
	v_mul_f64_e32 v[22:23], v[16:17], v[6:7]
	s_delay_alu instid0(VALU_DEP_2) | instskip(NEXT) | instid1(VALU_DEP_2)
	v_fma_f64 v[58:59], v[16:17], v[4:5], v[20:21]
	v_fma_f64 v[60:61], v[18:19], v[4:5], -v[22:23]
	s_clause 0x1
	global_load_b128 v[16:19], v255, s[8:9] offset:704
	global_load_b128 v[20:23], v255, s[8:9] offset:880
	v_lshl_add_u32 v4, v0, 4, v57
	v_mul_u32_u24_e32 v0, 10, v125
	s_wait_loadcnt 0x1
	v_mul_f64_e32 v[30:31], v[26:27], v[18:19]
	v_mul_f64_e32 v[32:33], v[24:25], v[18:19]
	s_delay_alu instid0(VALU_DEP_2) | instskip(NEXT) | instid1(VALU_DEP_2)
	v_fma_f64 v[62:63], v[24:25], v[16:17], v[30:31]
	v_fma_f64 v[64:65], v[26:27], v[16:17], -v[32:33]
	global_load_b128 v[24:27], v[28:29], off
	s_wait_loadcnt 0x0
	v_mul_f64_e32 v[30:31], v[26:27], v[22:23]
	v_mul_f64_e32 v[32:33], v[24:25], v[22:23]
	s_delay_alu instid0(VALU_DEP_2) | instskip(NEXT) | instid1(VALU_DEP_2)
	v_fma_f64 v[66:67], v[24:25], v[20:21], v[30:31]
	v_fma_f64 v[68:69], v[26:27], v[20:21], -v[32:33]
	global_load_b128 v[32:35], v[36:37], off
	s_clause 0x1
	global_load_b128 v[24:27], v255, s[8:9] offset:1056
	global_load_b128 v[28:31], v255, s[8:9] offset:1232
	v_add_co_u32 v36, vcc_lo, v36, s2
	s_wait_alu 0xfffd
	v_add_co_ci_u32_e32 v37, vcc_lo, s3, v37, vcc_lo
	s_delay_alu instid0(VALU_DEP_2) | instskip(SKIP_1) | instid1(VALU_DEP_2)
	v_add_co_u32 v82, vcc_lo, v36, s2
	s_wait_alu 0xfffd
	v_add_co_ci_u32_e32 v83, vcc_lo, s3, v37, vcc_lo
	s_delay_alu instid0(VALU_DEP_2) | instskip(SKIP_1) | instid1(VALU_DEP_2)
	v_add_co_u32 v86, vcc_lo, v82, s2
	s_wait_alu 0xfffd
	v_add_co_ci_u32_e32 v87, vcc_lo, s3, v83, vcc_lo
	s_wait_loadcnt 0x1
	v_mul_f64_e32 v[38:39], v[34:35], v[26:27]
	v_mul_f64_e32 v[40:41], v[32:33], v[26:27]
	s_delay_alu instid0(VALU_DEP_2) | instskip(NEXT) | instid1(VALU_DEP_2)
	v_fma_f64 v[70:71], v[32:33], v[24:25], v[38:39]
	v_fma_f64 v[72:73], v[34:35], v[24:25], -v[40:41]
	global_load_b128 v[32:35], v[36:37], off
	s_wait_loadcnt 0x0
	v_mul_f64_e32 v[38:39], v[34:35], v[30:31]
	v_mul_f64_e32 v[40:41], v[32:33], v[30:31]
	s_delay_alu instid0(VALU_DEP_2) | instskip(NEXT) | instid1(VALU_DEP_2)
	v_fma_f64 v[74:75], v[32:33], v[28:29], v[38:39]
	v_fma_f64 v[76:77], v[34:35], v[28:29], -v[40:41]
	global_load_b128 v[40:43], v[82:83], off
	s_clause 0x1
	global_load_b128 v[32:35], v255, s[8:9] offset:1408
	global_load_b128 v[36:39], v255, s[8:9] offset:1584
	s_wait_loadcnt 0x1
	v_mul_f64_e32 v[78:79], v[42:43], v[34:35]
	v_mul_f64_e32 v[80:81], v[40:41], v[34:35]
	s_delay_alu instid0(VALU_DEP_2) | instskip(NEXT) | instid1(VALU_DEP_2)
	v_fma_f64 v[78:79], v[40:41], v[32:33], v[78:79]
	v_fma_f64 v[80:81], v[42:43], v[32:33], -v[80:81]
	global_load_b128 v[40:43], v[86:87], off
	s_wait_loadcnt 0x0
	v_mul_f64_e32 v[82:83], v[42:43], v[38:39]
	v_mul_f64_e32 v[84:85], v[40:41], v[38:39]
	s_delay_alu instid0(VALU_DEP_2) | instskip(SKIP_3) | instid1(VALU_DEP_4)
	v_fma_f64 v[82:83], v[40:41], v[36:37], v[82:83]
	v_add_co_u32 v40, vcc_lo, v86, s2
	s_wait_alu 0xfffd
	v_add_co_ci_u32_e32 v41, vcc_lo, s3, v87, vcc_lo
	v_fma_f64 v[84:85], v[42:43], v[36:37], -v[84:85]
	global_load_b128 v[86:89], v[40:41], off
	global_load_b128 v[40:43], v255, s[8:9] offset:1760
	s_mov_b32 s2, 0x9bcd5057
	s_mov_b32 s3, 0xbfeeb42a
	s_wait_loadcnt 0x0
	v_mul_f64_e32 v[90:91], v[88:89], v[42:43]
	v_mul_f64_e32 v[92:93], v[86:87], v[42:43]
	s_delay_alu instid0(VALU_DEP_2) | instskip(NEXT) | instid1(VALU_DEP_2)
	v_fma_f64 v[86:87], v[86:87], v[40:41], v[90:91]
	v_fma_f64 v[88:89], v[88:89], v[40:41], -v[92:93]
	ds_store_b128 v126, v[44:47]
	ds_store_b128 v126, v[48:51] offset:176
	ds_store_b128 v126, v[52:55] offset:352
	;; [unrolled: 1-line block ×10, first 2 shown]
	s_load_b128 s[4:7], s[6:7], 0x0
	global_wb scope:SCOPE_SE
	s_wait_storecnt_dscnt 0x0
	s_wait_kmcnt 0x0
	s_barrier_signal -1
	s_barrier_wait -1
	global_inv scope:SCOPE_SE
	ds_load_b128 v[44:47], v126
	ds_load_b128 v[48:51], v126 offset:176
	ds_load_b128 v[52:55], v126 offset:352
	;; [unrolled: 1-line block ×3, first 2 shown]
	s_wait_dscnt 0x2
	v_add_f64_e32 v[62:63], v[44:45], v[48:49]
	v_add_f64_e32 v[64:65], v[46:47], v[50:51]
	s_wait_dscnt 0x1
	s_delay_alu instid0(VALU_DEP_2) | instskip(NEXT) | instid1(VALU_DEP_2)
	v_add_f64_e32 v[62:63], v[62:63], v[52:53]
	v_add_f64_e32 v[64:65], v[64:65], v[54:55]
	s_wait_dscnt 0x0
	s_delay_alu instid0(VALU_DEP_2) | instskip(NEXT) | instid1(VALU_DEP_2)
	v_add_f64_e32 v[70:71], v[62:63], v[58:59]
	v_add_f64_e32 v[72:73], v[64:65], v[60:61]
	ds_load_b128 v[62:65], v126 offset:704
	ds_load_b128 v[66:69], v126 offset:880
	s_wait_dscnt 0x1
	v_add_f64_e32 v[70:71], v[70:71], v[62:63]
	v_add_f64_e32 v[72:73], v[72:73], v[64:65]
	s_wait_dscnt 0x0
	s_delay_alu instid0(VALU_DEP_2) | instskip(NEXT) | instid1(VALU_DEP_2)
	v_add_f64_e32 v[78:79], v[70:71], v[66:67]
	v_add_f64_e32 v[80:81], v[72:73], v[68:69]
	ds_load_b128 v[70:73], v126 offset:1056
	ds_load_b128 v[74:77], v126 offset:1232
	s_wait_dscnt 0x1
	v_add_f64_e32 v[86:87], v[66:67], v[70:71]
	v_add_f64_e32 v[88:89], v[68:69], v[72:73]
	v_add_f64_e64 v[82:83], v[66:67], -v[70:71]
	v_add_f64_e64 v[84:85], v[68:69], -v[72:73]
	s_wait_dscnt 0x0
	v_add_f64_e32 v[90:91], v[62:63], v[74:75]
	v_add_f64_e32 v[92:93], v[64:65], v[76:77]
	v_add_f64_e32 v[66:67], v[78:79], v[70:71]
	v_add_f64_e32 v[68:69], v[80:81], v[72:73]
	v_add_f64_e64 v[70:71], v[64:65], -v[76:77]
	v_add_f64_e64 v[72:73], v[62:63], -v[74:75]
	v_mul_f64_e32 v[154:155], s[24:25], v[82:83]
	v_mul_f64_e32 v[152:153], s[24:25], v[84:85]
	v_mul_f64_e32 v[166:167], s[36:37], v[84:85]
	v_mul_f64_e32 v[168:169], s[36:37], v[82:83]
	v_mul_f64_e32 v[178:179], s[20:21], v[84:85]
	v_mul_f64_e32 v[180:181], s[20:21], v[82:83]
	v_mul_f64_e32 v[190:191], s[38:39], v[84:85]
	v_mul_f64_e32 v[192:193], s[38:39], v[82:83]
	v_mul_f64_e32 v[84:85], s[26:27], v[84:85]
	v_mul_f64_e32 v[82:83], s[26:27], v[82:83]
	v_add_f64_e32 v[74:75], v[66:67], v[74:75]
	v_add_f64_e32 v[76:77], v[68:69], v[76:77]
	ds_load_b128 v[62:65], v126 offset:1408
	ds_load_b128 v[66:69], v126 offset:1584
	v_mul_f64_e32 v[148:149], s[20:21], v[70:71]
	v_mul_f64_e32 v[150:151], s[20:21], v[72:73]
	;; [unrolled: 1-line block ×10, first 2 shown]
	s_wait_dscnt 0x1
	v_add_f64_e64 v[78:79], v[60:61], -v[64:65]
	v_add_f64_e64 v[80:81], v[58:59], -v[62:63]
	v_add_f64_e32 v[94:95], v[58:59], v[62:63]
	v_add_f64_e32 v[96:97], v[60:61], v[64:65]
	s_wait_dscnt 0x0
	v_add_f64_e32 v[98:99], v[52:53], v[66:67]
	v_add_f64_e32 v[101:102], v[54:55], v[68:69]
	;; [unrolled: 1-line block ×4, first 2 shown]
	v_add_f64_e64 v[74:75], v[54:55], -v[68:69]
	v_add_f64_e64 v[76:77], v[52:53], -v[66:67]
	ds_load_b128 v[52:55], v126 offset:1760
	global_wb scope:SCOPE_SE
	s_wait_dscnt 0x0
	s_barrier_signal -1
	s_barrier_wait -1
	global_inv scope:SCOPE_SE
	v_mul_f64_e32 v[144:145], s[26:27], v[78:79]
	v_mul_f64_e32 v[146:147], s[26:27], v[80:81]
	;; [unrolled: 1-line block ×3, first 2 shown]
	v_add_f64_e64 v[62:63], v[50:51], -v[54:55]
	v_add_f64_e64 v[64:65], v[48:49], -v[52:53]
	v_mul_f64_e32 v[172:173], s[38:39], v[80:81]
	v_mul_f64_e32 v[184:185], s[22:23], v[80:81]
	;; [unrolled: 1-line block ×3, first 2 shown]
	v_add_f64_e32 v[58:59], v[58:59], v[66:67]
	v_add_f64_e32 v[60:61], v[60:61], v[68:69]
	v_add_f64_e32 v[66:67], v[48:49], v[52:53]
	v_add_f64_e32 v[68:69], v[50:51], v[54:55]
	v_mul_f64_e32 v[140:141], s[28:29], v[74:75]
	v_mul_f64_e32 v[142:143], s[28:29], v[76:77]
	;; [unrolled: 1-line block ×10, first 2 shown]
	v_add_f64_e32 v[48:49], v[58:59], v[52:53]
	v_add_f64_e32 v[50:51], v[60:61], v[54:55]
	v_mul_f64_e32 v[52:53], s[22:23], v[62:63]
	v_mul_f64_e32 v[54:55], s[28:29], v[62:63]
	;; [unrolled: 1-line block ×5, first 2 shown]
	v_fma_f64 v[121:122], v[68:69], s[16:17], v[113:114]
	v_fma_f64 v[113:114], v[68:69], s[16:17], -v[113:114]
	v_fma_f64 v[123:124], v[68:69], s[14:15], v[115:116]
	v_fma_f64 v[115:116], v[68:69], s[14:15], -v[115:116]
	;; [unrolled: 2-line block ×3, first 2 shown]
	v_fma_f64 v[103:104], v[66:67], s[18:19], -v[52:53]
	v_fma_f64 v[52:53], v[66:67], s[18:19], v[52:53]
	v_fma_f64 v[105:106], v[66:67], s[16:17], -v[54:55]
	v_fma_f64 v[54:55], v[66:67], s[16:17], v[54:55]
	;; [unrolled: 2-line block ×5, first 2 shown]
	v_mul_f64_e32 v[66:67], s[22:23], v[64:65]
	v_mul_f64_e32 v[64:65], s[24:25], v[64:65]
	v_add_f64_e32 v[113:114], v[46:47], v[113:114]
	v_add_f64_e32 v[123:124], v[46:47], v[123:124]
	;; [unrolled: 1-line block ×13, first 2 shown]
	v_fma_f64 v[119:120], v[68:69], s[18:19], -v[66:67]
	v_fma_f64 v[66:67], v[68:69], s[18:19], v[66:67]
	v_fma_f64 v[130:131], v[68:69], s[2:3], v[64:65]
	v_fma_f64 v[64:65], v[68:69], s[2:3], -v[64:65]
	s_delay_alu instid0(VALU_DEP_4) | instskip(NEXT) | instid1(VALU_DEP_4)
	v_add_f64_e32 v[68:69], v[46:47], v[119:120]
	v_add_f64_e32 v[119:120], v[46:47], v[66:67]
	;; [unrolled: 1-line block ×5, first 2 shown]
	v_fma_f64 v[44:45], v[98:99], s[16:17], v[140:141]
	v_add_f64_e32 v[130:131], v[46:47], v[130:131]
	v_add_f64_e32 v[138:139], v[46:47], v[64:65]
	v_fma_f64 v[46:47], v[101:102], s[16:17], -v[142:143]
	v_fma_f64 v[54:55], v[101:102], s[12:13], v[158:159]
	v_add_f64_e32 v[44:45], v[44:45], v[52:53]
	v_fma_f64 v[52:53], v[94:95], s[14:15], v[144:145]
	s_delay_alu instid0(VALU_DEP_4) | instskip(NEXT) | instid1(VALU_DEP_4)
	v_add_f64_e32 v[46:47], v[46:47], v[68:69]
	v_add_f64_e32 v[54:55], v[54:55], v[105:106]
	v_mul_f64_e32 v[105:106], s[30:31], v[78:79]
	s_delay_alu instid0(VALU_DEP_4) | instskip(SKIP_1) | instid1(VALU_DEP_3)
	v_add_f64_e32 v[44:45], v[52:53], v[44:45]
	v_fma_f64 v[52:53], v[96:97], s[14:15], -v[146:147]
	v_fma_f64 v[58:59], v[94:95], s[2:3], -v[105:106]
	v_fma_f64 v[105:106], v[94:95], s[2:3], v[105:106]
	s_delay_alu instid0(VALU_DEP_3) | instskip(SKIP_1) | instid1(VALU_DEP_1)
	v_add_f64_e32 v[46:47], v[52:53], v[46:47]
	v_fma_f64 v[52:53], v[90:91], s[12:13], v[148:149]
	v_add_f64_e32 v[44:45], v[52:53], v[44:45]
	v_fma_f64 v[52:53], v[92:93], s[12:13], -v[150:151]
	s_delay_alu instid0(VALU_DEP_1) | instskip(SKIP_1) | instid1(VALU_DEP_1)
	v_add_f64_e32 v[46:47], v[52:53], v[46:47]
	v_fma_f64 v[52:53], v[86:87], s[2:3], v[152:153]
	v_add_f64_e32 v[44:45], v[52:53], v[44:45]
	v_fma_f64 v[52:53], v[88:89], s[2:3], -v[154:155]
	s_delay_alu instid0(VALU_DEP_1) | instskip(SKIP_1) | instid1(VALU_DEP_1)
	v_add_f64_e32 v[46:47], v[52:53], v[46:47]
	v_fma_f64 v[52:53], v[98:99], s[12:13], -v[156:157]
	v_add_f64_e32 v[52:53], v[52:53], v[66:67]
	s_delay_alu instid0(VALU_DEP_1) | instskip(SKIP_1) | instid1(VALU_DEP_1)
	v_add_f64_e32 v[52:53], v[58:59], v[52:53]
	v_fma_f64 v[58:59], v[96:97], s[2:3], v[160:161]
	v_add_f64_e32 v[54:55], v[58:59], v[54:55]
	v_fma_f64 v[58:59], v[90:91], s[14:15], -v[162:163]
	s_delay_alu instid0(VALU_DEP_1) | instskip(SKIP_1) | instid1(VALU_DEP_1)
	v_add_f64_e32 v[52:53], v[58:59], v[52:53]
	v_fma_f64 v[58:59], v[92:93], s[14:15], v[164:165]
	v_add_f64_e32 v[54:55], v[58:59], v[54:55]
	v_fma_f64 v[58:59], v[86:87], s[18:19], -v[166:167]
	;; [unrolled: 5-line block ×3, first 2 shown]
	s_delay_alu instid0(VALU_DEP_1) | instskip(SKIP_1) | instid1(VALU_DEP_1)
	v_add_f64_e32 v[58:59], v[58:59], v[107:108]
	v_mul_f64_e32 v[107:108], s[30:31], v[76:77]
	v_fma_f64 v[60:61], v[101:102], s[2:3], v[107:108]
	s_delay_alu instid0(VALU_DEP_1) | instskip(SKIP_1) | instid1(VALU_DEP_1)
	v_add_f64_e32 v[60:61], v[60:61], v[123:124]
	v_mul_f64_e32 v[123:124], s[38:39], v[78:79]
	v_fma_f64 v[62:63], v[94:95], s[16:17], -v[123:124]
	s_delay_alu instid0(VALU_DEP_1) | instskip(SKIP_1) | instid1(VALU_DEP_1)
	v_add_f64_e32 v[58:59], v[62:63], v[58:59]
	v_fma_f64 v[62:63], v[96:97], s[16:17], v[172:173]
	v_add_f64_e32 v[60:61], v[62:63], v[60:61]
	v_fma_f64 v[62:63], v[90:91], s[18:19], -v[174:175]
	s_delay_alu instid0(VALU_DEP_1) | instskip(SKIP_1) | instid1(VALU_DEP_1)
	v_add_f64_e32 v[58:59], v[62:63], v[58:59]
	v_fma_f64 v[62:63], v[92:93], s[18:19], v[176:177]
	v_add_f64_e32 v[60:61], v[62:63], v[60:61]
	v_fma_f64 v[62:63], v[86:87], s[12:13], -v[178:179]
	s_delay_alu instid0(VALU_DEP_1) | instskip(SKIP_1) | instid1(VALU_DEP_1)
	v_add_f64_e32 v[58:59], v[62:63], v[58:59]
	v_fma_f64 v[62:63], v[88:89], s[12:13], v[180:181]
	v_add_f64_e32 v[60:61], v[62:63], v[60:61]
	v_fma_f64 v[62:63], v[98:99], s[14:15], -v[182:183]
	s_delay_alu instid0(VALU_DEP_1) | instskip(SKIP_2) | instid1(VALU_DEP_2)
	v_add_f64_e32 v[62:63], v[62:63], v[109:110]
	v_mul_f64_e32 v[109:110], s[34:35], v[76:77]
	v_mul_f64_e32 v[76:77], s[36:37], v[76:77]
	v_fma_f64 v[64:65], v[101:102], s[14:15], v[109:110]
	s_delay_alu instid0(VALU_DEP_2) | instskip(SKIP_1) | instid1(VALU_DEP_3)
	v_fma_f64 v[68:69], v[101:102], s[18:19], v[76:77]
	v_fma_f64 v[76:77], v[101:102], s[18:19], -v[76:77]
	v_add_f64_e32 v[64:65], v[64:65], v[128:129]
	v_mul_f64_e32 v[128:129], s[22:23], v[78:79]
	v_mul_f64_e32 v[78:79], s[20:21], v[78:79]
	v_add_f64_e32 v[68:69], v[68:69], v[130:131]
	v_add_f64_e32 v[76:77], v[76:77], v[138:139]
	s_delay_alu instid0(VALU_DEP_4) | instskip(NEXT) | instid1(VALU_DEP_1)
	v_fma_f64 v[66:67], v[94:95], s[18:19], -v[128:129]
	v_add_f64_e32 v[62:63], v[66:67], v[62:63]
	v_fma_f64 v[66:67], v[96:97], s[18:19], v[184:185]
	s_delay_alu instid0(VALU_DEP_1) | instskip(SKIP_1) | instid1(VALU_DEP_1)
	v_add_f64_e32 v[64:65], v[66:67], v[64:65]
	v_fma_f64 v[66:67], v[90:91], s[2:3], -v[186:187]
	v_add_f64_e32 v[62:63], v[66:67], v[62:63]
	v_fma_f64 v[66:67], v[92:93], s[2:3], v[188:189]
	s_delay_alu instid0(VALU_DEP_1) | instskip(SKIP_1) | instid1(VALU_DEP_1)
	v_add_f64_e32 v[64:65], v[66:67], v[64:65]
	v_fma_f64 v[66:67], v[86:87], s[16:17], -v[190:191]
	v_add_f64_e32 v[62:63], v[66:67], v[62:63]
	v_fma_f64 v[66:67], v[88:89], s[16:17], v[192:193]
	s_delay_alu instid0(VALU_DEP_1) | instskip(SKIP_2) | instid1(VALU_DEP_2)
	v_add_f64_e32 v[64:65], v[66:67], v[64:65]
	v_fma_f64 v[66:67], v[98:99], s[18:19], -v[74:75]
	v_fma_f64 v[74:75], v[98:99], s[18:19], v[74:75]
	v_add_f64_e32 v[66:67], v[66:67], v[111:112]
	v_fma_f64 v[111:112], v[94:95], s[12:13], -v[78:79]
	s_delay_alu instid0(VALU_DEP_3) | instskip(SKIP_1) | instid1(VALU_DEP_3)
	v_add_f64_e32 v[74:75], v[74:75], v[136:137]
	v_fma_f64 v[78:79], v[94:95], s[12:13], v[78:79]
	v_add_f64_e32 v[66:67], v[111:112], v[66:67]
	v_fma_f64 v[111:112], v[96:97], s[12:13], v[80:81]
	s_delay_alu instid0(VALU_DEP_3) | instskip(SKIP_2) | instid1(VALU_DEP_4)
	v_add_f64_e32 v[74:75], v[78:79], v[74:75]
	v_fma_f64 v[78:79], v[96:97], s[12:13], -v[80:81]
	v_fma_f64 v[80:81], v[88:89], s[16:17], -v[192:193]
	v_add_f64_e32 v[68:69], v[111:112], v[68:69]
	v_fma_f64 v[111:112], v[90:91], s[16:17], -v[70:71]
	v_fma_f64 v[70:71], v[90:91], s[16:17], v[70:71]
	v_add_f64_e32 v[76:77], v[78:79], v[76:77]
	v_fma_f64 v[78:79], v[94:95], s[18:19], v[128:129]
	s_delay_alu instid0(VALU_DEP_4) | instskip(SKIP_4) | instid1(VALU_DEP_4)
	v_add_f64_e32 v[66:67], v[111:112], v[66:67]
	v_fma_f64 v[111:112], v[92:93], s[16:17], v[72:73]
	v_add_f64_e32 v[70:71], v[70:71], v[74:75]
	v_fma_f64 v[72:73], v[92:93], s[16:17], -v[72:73]
	v_fma_f64 v[74:75], v[86:87], s[14:15], v[84:85]
	v_add_f64_e32 v[68:69], v[111:112], v[68:69]
	v_fma_f64 v[111:112], v[86:87], s[14:15], -v[84:85]
	s_delay_alu instid0(VALU_DEP_4)
	v_add_f64_e32 v[72:73], v[72:73], v[76:77]
	v_fma_f64 v[76:77], v[88:89], s[14:15], -v[82:83]
	v_add_f64_e32 v[70:71], v[74:75], v[70:71]
	v_fma_f64 v[74:75], v[98:99], s[14:15], v[182:183]
	v_fma_f64 v[84:85], v[88:89], s[12:13], -v[180:181]
	v_add_f64_e32 v[66:67], v[111:112], v[66:67]
	v_fma_f64 v[111:112], v[88:89], s[14:15], v[82:83]
	v_add_f64_e32 v[72:73], v[76:77], v[72:73]
	v_fma_f64 v[76:77], v[101:102], s[14:15], -v[109:110]
	v_add_f64_e32 v[74:75], v[74:75], v[134:135]
	v_fma_f64 v[82:83], v[94:95], s[16:17], v[123:124]
	v_fma_f64 v[94:95], v[94:95], s[14:15], -v[144:145]
	v_add_f64_e32 v[68:69], v[111:112], v[68:69]
	v_add_f64_e32 v[76:77], v[76:77], v[117:118]
	;; [unrolled: 1-line block ×3, first 2 shown]
	v_fma_f64 v[78:79], v[96:97], s[18:19], -v[184:185]
	s_delay_alu instid0(VALU_DEP_1) | instskip(SKIP_1) | instid1(VALU_DEP_1)
	v_add_f64_e32 v[76:77], v[78:79], v[76:77]
	v_fma_f64 v[78:79], v[90:91], s[2:3], v[186:187]
	v_add_f64_e32 v[74:75], v[78:79], v[74:75]
	v_fma_f64 v[78:79], v[92:93], s[2:3], -v[188:189]
	s_delay_alu instid0(VALU_DEP_1) | instskip(SKIP_1) | instid1(VALU_DEP_2)
	v_add_f64_e32 v[76:77], v[78:79], v[76:77]
	v_fma_f64 v[78:79], v[86:87], s[16:17], v[190:191]
	v_add_f64_e32 v[76:77], v[80:81], v[76:77]
	s_delay_alu instid0(VALU_DEP_2) | instskip(SKIP_4) | instid1(VALU_DEP_4)
	v_add_f64_e32 v[74:75], v[78:79], v[74:75]
	v_fma_f64 v[78:79], v[98:99], s[2:3], v[170:171]
	v_fma_f64 v[80:81], v[101:102], s[2:3], -v[107:108]
	v_fma_f64 v[107:108], v[88:89], s[18:19], -v[168:169]
	v_fma_f64 v[88:89], v[88:89], s[2:3], v[154:155]
	v_add_f64_e32 v[78:79], v[78:79], v[132:133]
	s_delay_alu instid0(VALU_DEP_4) | instskip(NEXT) | instid1(VALU_DEP_2)
	v_add_f64_e32 v[80:81], v[80:81], v[115:116]
	v_add_f64_e32 v[78:79], v[82:83], v[78:79]
	v_fma_f64 v[82:83], v[96:97], s[16:17], -v[172:173]
	s_delay_alu instid0(VALU_DEP_1) | instskip(SKIP_1) | instid1(VALU_DEP_1)
	v_add_f64_e32 v[80:81], v[82:83], v[80:81]
	v_fma_f64 v[82:83], v[90:91], s[18:19], v[174:175]
	v_add_f64_e32 v[78:79], v[82:83], v[78:79]
	v_fma_f64 v[82:83], v[92:93], s[18:19], -v[176:177]
	s_delay_alu instid0(VALU_DEP_1) | instskip(SKIP_1) | instid1(VALU_DEP_2)
	v_add_f64_e32 v[80:81], v[82:83], v[80:81]
	v_fma_f64 v[82:83], v[86:87], s[12:13], v[178:179]
	v_add_f64_e32 v[80:81], v[84:85], v[80:81]
	s_delay_alu instid0(VALU_DEP_2) | instskip(SKIP_4) | instid1(VALU_DEP_4)
	v_add_f64_e32 v[78:79], v[82:83], v[78:79]
	v_fma_f64 v[82:83], v[98:99], s[12:13], v[156:157]
	v_fma_f64 v[84:85], v[101:102], s[12:13], -v[158:159]
	v_fma_f64 v[98:99], v[98:99], s[16:17], -v[140:141]
	v_fma_f64 v[101:102], v[101:102], s[16:17], v[142:143]
	v_add_f64_e32 v[82:83], v[82:83], v[121:122]
	s_delay_alu instid0(VALU_DEP_4) | instskip(NEXT) | instid1(VALU_DEP_4)
	v_add_f64_e32 v[84:85], v[84:85], v[113:114]
	v_add_f64_e32 v[98:99], v[98:99], v[103:104]
	s_delay_alu instid0(VALU_DEP_4) | instskip(NEXT) | instid1(VALU_DEP_4)
	v_add_f64_e32 v[101:102], v[101:102], v[119:120]
	v_add_f64_e32 v[82:83], v[105:106], v[82:83]
	v_fma_f64 v[105:106], v[96:97], s[2:3], -v[160:161]
	v_fma_f64 v[96:97], v[96:97], s[14:15], v[146:147]
	v_add_f64_e32 v[94:95], v[94:95], v[98:99]
	s_delay_alu instid0(VALU_DEP_3) | instskip(SKIP_3) | instid1(VALU_DEP_3)
	v_add_f64_e32 v[84:85], v[105:106], v[84:85]
	v_fma_f64 v[105:106], v[90:91], s[14:15], v[162:163]
	v_fma_f64 v[90:91], v[90:91], s[12:13], -v[148:149]
	v_add_f64_e32 v[96:97], v[96:97], v[101:102]
	v_add_f64_e32 v[82:83], v[105:106], v[82:83]
	v_fma_f64 v[105:106], v[92:93], s[14:15], -v[164:165]
	v_fma_f64 v[92:93], v[92:93], s[12:13], v[150:151]
	v_add_f64_e32 v[90:91], v[90:91], v[94:95]
	s_delay_alu instid0(VALU_DEP_3) | instskip(SKIP_3) | instid1(VALU_DEP_4)
	v_add_f64_e32 v[84:85], v[105:106], v[84:85]
	v_fma_f64 v[105:106], v[86:87], s[18:19], v[166:167]
	v_fma_f64 v[86:87], v[86:87], s[2:3], -v[152:153]
	v_add_f64_e32 v[92:93], v[92:93], v[96:97]
	v_add_f64_e32 v[84:85], v[107:108], v[84:85]
	s_delay_alu instid0(VALU_DEP_4) | instskip(NEXT) | instid1(VALU_DEP_4)
	v_add_f64_e32 v[82:83], v[105:106], v[82:83]
	v_add_f64_e32 v[86:87], v[86:87], v[90:91]
	s_delay_alu instid0(VALU_DEP_4)
	v_add_f64_e32 v[88:89], v[88:89], v[92:93]
	ds_store_b128 v4, v[52:55] offset:32
	ds_store_b128 v4, v[58:61] offset:48
	;; [unrolled: 1-line block ×10, first 2 shown]
	ds_store_b128 v4, v[48:51]
	v_lshlrev_b32_e32 v68, 4, v0
	global_wb scope:SCOPE_SE
	s_wait_dscnt 0x0
	s_barrier_signal -1
	s_barrier_wait -1
	global_inv scope:SCOPE_SE
	s_clause 0x1
	global_load_b128 v[44:47], v68, s[10:11]
	global_load_b128 v[48:51], v68, s[10:11] offset:16
	ds_load_b128 v[52:55], v126 offset:176
	ds_load_b128 v[129:132], v126
	s_wait_loadcnt_dscnt 0x101
	v_mul_f64_e32 v[56:57], v[54:55], v[46:47]
	s_delay_alu instid0(VALU_DEP_1) | instskip(SKIP_1) | instid1(VALU_DEP_1)
	v_fma_f64 v[123:124], v[52:53], v[44:45], -v[56:57]
	v_mul_f64_e32 v[52:53], v[52:53], v[46:47]
	v_fma_f64 v[133:134], v[54:55], v[44:45], v[52:53]
	s_clause 0x1
	global_load_b128 v[64:67], v68, s[10:11] offset:144
	global_load_b128 v[52:55], v68, s[10:11] offset:128
	ds_load_b128 v[56:59], v126 offset:1760
	s_wait_loadcnt_dscnt 0x100
	v_mul_f64_e32 v[60:61], v[56:57], v[66:67]
	s_delay_alu instid0(VALU_DEP_1) | instskip(SKIP_1) | instid1(VALU_DEP_2)
	v_fma_f64 v[84:85], v[58:59], v[64:65], v[60:61]
	v_mul_f64_e32 v[58:59], v[58:59], v[66:67]
	v_add_f64_e32 v[163:164], v[133:134], v[84:85]
	s_delay_alu instid0(VALU_DEP_2)
	v_fma_f64 v[86:87], v[56:57], v[64:65], -v[58:59]
	ds_load_b128 v[56:59], v126 offset:352
	ds_load_b128 v[60:63], v126 offset:528
	s_wait_dscnt 0x1
	v_mul_f64_e32 v[69:70], v[58:59], v[50:51]
	v_add_f64_e32 v[143:144], v[123:124], v[86:87]
	s_delay_alu instid0(VALU_DEP_2) | instskip(SKIP_1) | instid1(VALU_DEP_1)
	v_fma_f64 v[92:93], v[56:57], v[48:49], -v[69:70]
	v_mul_f64_e32 v[56:57], v[56:57], v[50:51]
	v_fma_f64 v[94:95], v[58:59], v[48:49], v[56:57]
	ds_load_b128 v[56:59], v126 offset:1584
	ds_load_b128 v[69:72], v126 offset:1408
	s_wait_loadcnt_dscnt 0x1
	v_mul_f64_e32 v[73:74], v[56:57], v[54:55]
	s_delay_alu instid0(VALU_DEP_1) | instskip(SKIP_1) | instid1(VALU_DEP_2)
	v_fma_f64 v[88:89], v[58:59], v[52:53], v[73:74]
	v_mul_f64_e32 v[58:59], v[58:59], v[54:55]
	v_add_f64_e64 v[179:180], v[94:95], -v[88:89]
	s_delay_alu instid0(VALU_DEP_2)
	v_fma_f64 v[90:91], v[56:57], v[52:53], -v[58:59]
	s_clause 0x1
	global_load_b128 v[80:83], v68, s[10:11] offset:32
	global_load_b128 v[56:59], v68, s[10:11] offset:48
	v_add_f64_e32 v[187:188], v[94:95], v[88:89]
	v_mul_f64_e32 v[183:184], s[28:29], v[179:180]
	v_add_f64_e32 v[181:182], v[92:93], v[90:91]
	v_add_f64_e64 v[185:186], v[92:93], -v[90:91]
	v_mul_f64_e32 v[227:228], s[20:21], v[179:180]
	v_mul_f64_e32 v[243:244], s[30:31], v[179:180]
	;; [unrolled: 1-line block ×3, first 2 shown]
	s_delay_alu instid0(VALU_DEP_4) | instskip(SKIP_2) | instid1(VALU_DEP_4)
	v_mul_f64_e32 v[189:190], s[28:29], v[185:186]
	v_mul_f64_e32 v[229:230], s[20:21], v[185:186]
	v_mul_f64_e32 v[245:246], s[30:31], v[185:186]
	v_fma_f64 v[5:6], v[181:182], s[14:15], -v[127:128]
	s_wait_loadcnt 0x1
	v_mul_f64_e32 v[73:74], v[62:63], v[82:83]
	s_delay_alu instid0(VALU_DEP_1) | instskip(SKIP_1) | instid1(VALU_DEP_1)
	v_fma_f64 v[101:102], v[60:61], v[80:81], -v[73:74]
	v_mul_f64_e32 v[60:61], v[60:61], v[82:83]
	v_fma_f64 v[103:104], v[62:63], v[80:81], v[60:61]
	s_clause 0x1
	global_load_b128 v[76:79], v68, s[10:11] offset:112
	global_load_b128 v[60:63], v68, s[10:11] offset:96
	s_wait_loadcnt_dscnt 0x100
	v_mul_f64_e32 v[73:74], v[69:70], v[78:79]
	s_delay_alu instid0(VALU_DEP_1) | instskip(SKIP_1) | instid1(VALU_DEP_2)
	v_fma_f64 v[96:97], v[71:72], v[76:77], v[73:74]
	v_mul_f64_e32 v[71:72], v[71:72], v[78:79]
	v_add_f64_e64 v[191:192], v[103:104], -v[96:97]
	s_delay_alu instid0(VALU_DEP_2)
	v_fma_f64 v[98:99], v[69:70], v[76:77], -v[71:72]
	ds_load_b128 v[69:72], v126 offset:704
	ds_load_b128 v[111:114], v126 offset:880
	v_add_f64_e32 v[199:200], v[103:104], v[96:97]
	s_wait_dscnt 0x1
	v_mul_f64_e32 v[73:74], v[71:72], v[58:59]
	v_mul_f64_e32 v[195:196], s[26:27], v[191:192]
	v_add_f64_e32 v[193:194], v[101:102], v[98:99]
	v_add_f64_e64 v[197:198], v[101:102], -v[98:99]
	v_mul_f64_e32 v[231:232], s[30:31], v[191:192]
	v_mul_f64_e32 v[247:248], s[38:39], v[191:192]
	v_fma_f64 v[105:106], v[69:70], v[56:57], -v[73:74]
	v_mul_f64_e32 v[69:70], v[69:70], v[58:59]
	v_mul_f64_e32 v[201:202], s[26:27], v[197:198]
	;; [unrolled: 1-line block ×4, first 2 shown]
	s_delay_alu instid0(VALU_DEP_4)
	v_fma_f64 v[107:108], v[71:72], v[56:57], v[69:70]
	s_clause 0x1
	global_load_b128 v[72:75], v68, s[10:11] offset:64
	global_load_b128 v[68:71], v68, s[10:11] offset:80
	ds_load_b128 v[115:118], v126 offset:1056
	ds_load_b128 v[119:122], v126 offset:1232
	s_wait_loadcnt_dscnt 0x102
	v_mul_f64_e32 v[109:110], v[113:114], v[74:75]
	s_delay_alu instid0(VALU_DEP_1) | instskip(SKIP_1) | instid1(VALU_DEP_1)
	v_fma_f64 v[109:110], v[111:112], v[72:73], -v[109:110]
	v_mul_f64_e32 v[111:112], v[111:112], v[74:75]
	v_fma_f64 v[111:112], v[113:114], v[72:73], v[111:112]
	s_wait_loadcnt_dscnt 0x1
	v_mul_f64_e32 v[113:114], v[117:118], v[70:71]
	s_delay_alu instid0(VALU_DEP_1) | instskip(SKIP_1) | instid1(VALU_DEP_2)
	v_fma_f64 v[113:114], v[115:116], v[68:69], -v[113:114]
	v_mul_f64_e32 v[115:116], v[115:116], v[70:71]
	v_add_f64_e32 v[217:218], v[109:110], v[113:114]
	s_delay_alu instid0(VALU_DEP_2) | instskip(SKIP_3) | instid1(VALU_DEP_3)
	v_fma_f64 v[115:116], v[117:118], v[68:69], v[115:116]
	s_wait_dscnt 0x0
	v_mul_f64_e32 v[117:118], v[121:122], v[62:63]
	v_add_f64_e64 v[221:222], v[109:110], -v[113:114]
	v_add_f64_e64 v[215:216], v[111:112], -v[115:116]
	s_delay_alu instid0(VALU_DEP_3)
	v_fma_f64 v[117:118], v[119:120], v[60:61], -v[117:118]
	v_mul_f64_e32 v[119:120], v[119:120], v[62:63]
	v_add_f64_e32 v[223:224], v[111:112], v[115:116]
	v_mul_f64_e32 v[225:226], s[24:25], v[221:222]
	v_mul_f64_e32 v[241:242], s[36:37], v[221:222]
	;; [unrolled: 1-line block ×4, first 2 shown]
	v_add_f64_e32 v[205:206], v[105:106], v[117:118]
	v_fma_f64 v[119:120], v[121:122], v[60:61], v[119:120]
	v_add_f64_e64 v[121:122], v[133:134], -v[84:85]
	v_add_f64_e64 v[209:210], v[105:106], -v[117:118]
	v_mul_f64_e32 v[239:240], s[36:37], v[215:216]
	v_mul_f64_e32 v[11:12], s[20:21], v[215:216]
	v_add_f64_e64 v[203:204], v[107:108], -v[119:120]
	v_mul_f64_e32 v[135:136], s[22:23], v[121:122]
	v_mul_f64_e32 v[137:138], s[28:29], v[121:122]
	;; [unrolled: 1-line block ×5, first 2 shown]
	v_add_f64_e32 v[211:212], v[107:108], v[119:120]
	v_mul_f64_e32 v[213:214], s[20:21], v[209:210]
	v_mul_f64_e32 v[237:238], s[34:35], v[209:210]
	v_fma_f64 v[2:3], v[217:218], s[12:13], -v[11:12]
	v_mul_f64_e32 v[253:254], s[22:23], v[209:210]
	v_mul_f64_e32 v[0:1], s[24:25], v[209:210]
	v_mul_f64_e32 v[207:208], s[20:21], v[203:204]
	v_fma_f64 v[145:146], v[143:144], s[18:19], -v[135:136]
	v_fma_f64 v[135:136], v[143:144], s[18:19], v[135:136]
	v_fma_f64 v[147:148], v[143:144], s[16:17], -v[137:138]
	v_fma_f64 v[137:138], v[143:144], s[16:17], v[137:138]
	;; [unrolled: 2-line block ×5, first 2 shown]
	v_add_f64_e64 v[121:122], v[123:124], -v[86:87]
	v_mul_f64_e32 v[235:236], s[34:35], v[203:204]
	v_mul_f64_e32 v[251:252], s[22:23], v[203:204]
	v_fma_f64 v[13:14], v[211:212], s[2:3], v[0:1]
	v_fma_f64 v[0:1], v[211:212], s[2:3], -v[0:1]
	v_add_f64_e32 v[175:176], v[129:130], v[145:146]
	v_add_f64_e32 v[145:146], v[129:130], v[147:148]
	;; [unrolled: 1-line block ×4, first 2 shown]
	v_mul_f64_e32 v[155:156], s[22:23], v[121:122]
	v_mul_f64_e32 v[157:158], s[28:29], v[121:122]
	;; [unrolled: 1-line block ×5, first 2 shown]
	v_add_f64_e32 v[5:6], v[5:6], v[151:152]
	v_mul_f64_e32 v[151:152], s[24:25], v[203:204]
	v_fma_f64 v[165:166], v[163:164], s[18:19], v[155:156]
	v_fma_f64 v[155:156], v[163:164], s[18:19], -v[155:156]
	v_fma_f64 v[167:168], v[163:164], s[16:17], v[157:158]
	v_fma_f64 v[157:158], v[163:164], s[16:17], -v[157:158]
	v_fma_f64 v[169:170], v[163:164], s[14:15], v[159:160]
	v_fma_f64 v[171:172], v[163:164], s[12:13], v[161:162]
	;; [unrolled: 1-line block ×3, first 2 shown]
	v_fma_f64 v[159:160], v[163:164], s[14:15], -v[159:160]
	v_fma_f64 v[161:162], v[163:164], s[12:13], -v[161:162]
	;; [unrolled: 1-line block ×3, first 2 shown]
	v_add_f64_e32 v[121:122], v[129:130], v[123:124]
	v_add_f64_e32 v[123:124], v[131:132], v[133:134]
	;; [unrolled: 1-line block ×15, first 2 shown]
	v_fma_f64 v[129:130], v[181:182], s[16:17], v[183:184]
	v_add_f64_e32 v[159:160], v[131:132], v[159:160]
	v_add_f64_e32 v[161:162], v[131:132], v[161:162]
	;; [unrolled: 1-line block ×3, first 2 shown]
	v_fma_f64 v[131:132], v[187:188], s[16:17], -v[189:190]
	v_fma_f64 v[139:140], v[193:194], s[2:3], -v[231:232]
	;; [unrolled: 1-line block ×3, first 2 shown]
	v_add_f64_e32 v[129:130], v[129:130], v[133:134]
	v_fma_f64 v[133:134], v[193:194], s[14:15], v[195:196]
	v_add_f64_e32 v[131:132], v[131:132], v[135:136]
	v_fma_f64 v[135:136], v[187:188], s[12:13], v[229:230]
	s_delay_alu instid0(VALU_DEP_3) | instskip(SKIP_1) | instid1(VALU_DEP_3)
	v_add_f64_e32 v[129:130], v[133:134], v[129:130]
	v_fma_f64 v[133:134], v[199:200], s[14:15], -v[201:202]
	v_add_f64_e32 v[135:136], v[135:136], v[147:148]
	s_delay_alu instid0(VALU_DEP_2) | instskip(SKIP_1) | instid1(VALU_DEP_1)
	v_add_f64_e32 v[131:132], v[133:134], v[131:132]
	v_fma_f64 v[133:134], v[205:206], s[12:13], v[207:208]
	v_add_f64_e32 v[129:130], v[133:134], v[129:130]
	v_fma_f64 v[133:134], v[211:212], s[12:13], -v[213:214]
	s_delay_alu instid0(VALU_DEP_1) | instskip(SKIP_1) | instid1(VALU_DEP_1)
	v_add_f64_e32 v[131:132], v[133:134], v[131:132]
	v_fma_f64 v[133:134], v[217:218], s[2:3], v[219:220]
	v_add_f64_e32 v[129:130], v[133:134], v[129:130]
	v_fma_f64 v[133:134], v[223:224], s[2:3], -v[225:226]
	s_delay_alu instid0(VALU_DEP_1) | instskip(SKIP_1) | instid1(VALU_DEP_1)
	v_add_f64_e32 v[131:132], v[133:134], v[131:132]
	v_fma_f64 v[133:134], v[181:182], s[12:13], -v[227:228]
	v_add_f64_e32 v[133:134], v[133:134], v[145:146]
	s_delay_alu instid0(VALU_DEP_1) | instskip(SKIP_1) | instid1(VALU_DEP_1)
	v_add_f64_e32 v[133:134], v[139:140], v[133:134]
	v_fma_f64 v[139:140], v[199:200], s[2:3], v[233:234]
	v_add_f64_e32 v[135:136], v[139:140], v[135:136]
	v_fma_f64 v[139:140], v[205:206], s[14:15], -v[235:236]
	s_delay_alu instid0(VALU_DEP_1) | instskip(SKIP_1) | instid1(VALU_DEP_1)
	v_add_f64_e32 v[133:134], v[139:140], v[133:134]
	v_fma_f64 v[139:140], v[211:212], s[14:15], v[237:238]
	v_add_f64_e32 v[135:136], v[139:140], v[135:136]
	v_fma_f64 v[139:140], v[217:218], s[18:19], -v[239:240]
	;; [unrolled: 5-line block ×3, first 2 shown]
	s_delay_alu instid0(VALU_DEP_1) | instskip(SKIP_1) | instid1(VALU_DEP_2)
	v_add_f64_e32 v[137:138], v[139:140], v[137:138]
	v_fma_f64 v[139:140], v[187:188], s[2:3], v[245:246]
	v_add_f64_e32 v[137:138], v[141:142], v[137:138]
	s_delay_alu instid0(VALU_DEP_2) | instskip(SKIP_2) | instid1(VALU_DEP_2)
	v_add_f64_e32 v[139:140], v[139:140], v[149:150]
	v_fma_f64 v[141:142], v[199:200], s[16:17], v[249:250]
	v_mul_f64_e32 v[149:150], s[22:23], v[197:198]
	v_add_f64_e32 v[139:140], v[141:142], v[139:140]
	v_fma_f64 v[141:142], v[205:206], s[18:19], -v[251:252]
	s_delay_alu instid0(VALU_DEP_1) | instskip(SKIP_1) | instid1(VALU_DEP_2)
	v_add_f64_e32 v[137:138], v[141:142], v[137:138]
	v_fma_f64 v[141:142], v[211:212], s[18:19], v[253:254]
	v_add_f64_e32 v[137:138], v[2:3], v[137:138]
	v_mul_f64_e32 v[2:3], s[34:35], v[185:186]
	s_delay_alu instid0(VALU_DEP_3) | instskip(SKIP_2) | instid1(VALU_DEP_4)
	v_add_f64_e32 v[139:140], v[141:142], v[139:140]
	v_fma_f64 v[141:142], v[223:224], s[12:13], v[7:8]
	v_fma_f64 v[7:8], v[223:224], s[12:13], -v[7:8]
	v_fma_f64 v[9:10], v[187:188], s[14:15], v[2:3]
	v_fma_f64 v[2:3], v[187:188], s[14:15], -v[2:3]
	s_delay_alu instid0(VALU_DEP_4) | instskip(NEXT) | instid1(VALU_DEP_3)
	v_add_f64_e32 v[139:140], v[141:142], v[139:140]
	v_add_f64_e32 v[9:10], v[9:10], v[155:156]
	v_mul_f64_e32 v[155:156], s[22:23], v[191:192]
	s_delay_alu instid0(VALU_DEP_4) | instskip(NEXT) | instid1(VALU_DEP_2)
	v_add_f64_e32 v[2:3], v[2:3], v[161:162]
	v_fma_f64 v[141:142], v[193:194], s[18:19], -v[155:156]
	s_delay_alu instid0(VALU_DEP_1) | instskip(SKIP_1) | instid1(VALU_DEP_1)
	v_add_f64_e32 v[5:6], v[141:142], v[5:6]
	v_fma_f64 v[141:142], v[199:200], s[18:19], v[149:150]
	v_add_f64_e32 v[9:10], v[141:142], v[9:10]
	v_fma_f64 v[141:142], v[205:206], s[2:3], -v[151:152]
	s_delay_alu instid0(VALU_DEP_2) | instskip(SKIP_1) | instid1(VALU_DEP_3)
	v_add_f64_e32 v[9:10], v[13:14], v[9:10]
	v_mul_f64_e32 v[13:14], s[38:39], v[215:216]
	v_add_f64_e32 v[5:6], v[141:142], v[5:6]
	s_delay_alu instid0(VALU_DEP_2) | instskip(NEXT) | instid1(VALU_DEP_1)
	v_fma_f64 v[141:142], v[217:218], s[16:17], -v[13:14]
	v_add_f64_e32 v[141:142], v[141:142], v[5:6]
	v_mul_f64_e32 v[5:6], s[38:39], v[221:222]
	s_delay_alu instid0(VALU_DEP_1) | instskip(SKIP_1) | instid1(VALU_DEP_2)
	v_fma_f64 v[143:144], v[223:224], s[16:17], v[5:6]
	v_fma_f64 v[5:6], v[223:224], s[16:17], -v[5:6]
	v_add_f64_e32 v[143:144], v[143:144], v[9:10]
	v_mul_f64_e32 v[9:10], s[36:37], v[179:180]
	s_delay_alu instid0(VALU_DEP_1) | instskip(SKIP_1) | instid1(VALU_DEP_2)
	v_fma_f64 v[145:146], v[181:182], s[18:19], -v[9:10]
	v_fma_f64 v[9:10], v[181:182], s[18:19], v[9:10]
	v_add_f64_e32 v[145:146], v[145:146], v[153:154]
	v_mul_f64_e32 v[153:154], s[36:37], v[185:186]
	s_delay_alu instid0(VALU_DEP_3) | instskip(NEXT) | instid1(VALU_DEP_2)
	v_add_f64_e32 v[9:10], v[9:10], v[173:174]
	v_fma_f64 v[147:148], v[187:188], s[18:19], v[153:154]
	v_fma_f64 v[153:154], v[187:188], s[18:19], -v[153:154]
	s_delay_alu instid0(VALU_DEP_2) | instskip(SKIP_1) | instid1(VALU_DEP_3)
	v_add_f64_e32 v[147:148], v[147:148], v[171:172]
	v_mul_f64_e32 v[171:172], s[20:21], v[191:192]
	v_add_f64_e32 v[153:154], v[153:154], v[163:164]
	s_delay_alu instid0(VALU_DEP_2) | instskip(SKIP_1) | instid1(VALU_DEP_2)
	v_fma_f64 v[179:180], v[193:194], s[12:13], -v[171:172]
	v_fma_f64 v[163:164], v[193:194], s[12:13], v[171:172]
	v_add_f64_e32 v[145:146], v[179:180], v[145:146]
	v_mul_f64_e32 v[179:180], s[20:21], v[197:198]
	s_delay_alu instid0(VALU_DEP_3) | instskip(NEXT) | instid1(VALU_DEP_2)
	v_add_f64_e32 v[9:10], v[163:164], v[9:10]
	v_fma_f64 v[185:186], v[199:200], s[12:13], v[179:180]
	v_fma_f64 v[163:164], v[199:200], s[12:13], -v[179:180]
	s_delay_alu instid0(VALU_DEP_2) | instskip(SKIP_1) | instid1(VALU_DEP_3)
	v_add_f64_e32 v[147:148], v[185:186], v[147:148]
	v_mul_f64_e32 v[185:186], s[38:39], v[203:204]
	v_add_f64_e32 v[153:154], v[163:164], v[153:154]
	v_mul_f64_e32 v[203:204], s[26:27], v[221:222]
	s_delay_alu instid0(VALU_DEP_3) | instskip(SKIP_1) | instid1(VALU_DEP_3)
	v_fma_f64 v[191:192], v[205:206], s[16:17], -v[185:186]
	v_fma_f64 v[163:164], v[205:206], s[16:17], v[185:186]
	v_fma_f64 v[173:174], v[223:224], s[14:15], -v[203:204]
	s_delay_alu instid0(VALU_DEP_3) | instskip(SKIP_1) | instid1(VALU_DEP_4)
	v_add_f64_e32 v[145:146], v[191:192], v[145:146]
	v_mul_f64_e32 v[191:192], s[38:39], v[209:210]
	v_add_f64_e32 v[9:10], v[163:164], v[9:10]
	s_delay_alu instid0(VALU_DEP_2) | instskip(SKIP_1) | instid1(VALU_DEP_2)
	v_fma_f64 v[197:198], v[211:212], s[16:17], v[191:192]
	v_fma_f64 v[163:164], v[211:212], s[16:17], -v[191:192]
	v_add_f64_e32 v[147:148], v[197:198], v[147:148]
	v_mul_f64_e32 v[197:198], s[26:27], v[215:216]
	s_delay_alu instid0(VALU_DEP_3) | instskip(NEXT) | instid1(VALU_DEP_2)
	v_add_f64_e32 v[153:154], v[163:164], v[153:154]
	v_fma_f64 v[163:164], v[217:218], s[14:15], v[197:198]
	s_delay_alu instid0(VALU_DEP_2) | instskip(SKIP_1) | instid1(VALU_DEP_3)
	v_add_f64_e32 v[173:174], v[173:174], v[153:154]
	v_fma_f64 v[209:210], v[217:218], s[14:15], -v[197:198]
	v_add_f64_e32 v[171:172], v[163:164], v[9:10]
	v_fma_f64 v[9:10], v[181:182], s[14:15], v[127:128]
	v_fma_f64 v[127:128], v[193:194], s[18:19], v[155:156]
	s_delay_alu instid0(VALU_DEP_4) | instskip(SKIP_1) | instid1(VALU_DEP_4)
	v_add_f64_e32 v[145:146], v[209:210], v[145:146]
	v_fma_f64 v[209:210], v[223:224], s[14:15], v[203:204]
	v_add_f64_e32 v[9:10], v[9:10], v[169:170]
	s_delay_alu instid0(VALU_DEP_2) | instskip(NEXT) | instid1(VALU_DEP_2)
	v_add_f64_e32 v[147:148], v[209:210], v[147:148]
	v_add_f64_e32 v[9:10], v[127:128], v[9:10]
	v_fma_f64 v[127:128], v[199:200], s[18:19], -v[149:150]
	s_delay_alu instid0(VALU_DEP_1) | instskip(SKIP_1) | instid1(VALU_DEP_2)
	v_add_f64_e32 v[2:3], v[127:128], v[2:3]
	v_fma_f64 v[127:128], v[205:206], s[2:3], v[151:152]
	v_add_f64_e32 v[0:1], v[0:1], v[2:3]
	s_delay_alu instid0(VALU_DEP_2) | instskip(SKIP_1) | instid1(VALU_DEP_3)
	v_add_f64_e32 v[9:10], v[127:128], v[9:10]
	v_fma_f64 v[2:3], v[217:218], s[16:17], v[13:14]
	v_add_f64_e32 v[155:156], v[5:6], v[0:1]
	v_fma_f64 v[0:1], v[181:182], s[2:3], v[243:244]
	s_delay_alu instid0(VALU_DEP_3) | instskip(SKIP_4) | instid1(VALU_DEP_4)
	v_add_f64_e32 v[153:154], v[2:3], v[9:10]
	v_fma_f64 v[2:3], v[187:188], s[2:3], -v[245:246]
	v_fma_f64 v[5:6], v[193:194], s[16:17], v[247:248]
	v_fma_f64 v[9:10], v[205:206], s[12:13], -v[207:208]
	v_add_f64_e32 v[0:1], v[0:1], v[157:158]
	v_add_f64_e32 v[2:3], v[2:3], v[159:160]
	s_delay_alu instid0(VALU_DEP_2) | instskip(SKIP_1) | instid1(VALU_DEP_1)
	v_add_f64_e32 v[0:1], v[5:6], v[0:1]
	v_fma_f64 v[5:6], v[199:200], s[16:17], -v[249:250]
	v_add_f64_e32 v[2:3], v[5:6], v[2:3]
	v_fma_f64 v[5:6], v[205:206], s[18:19], v[251:252]
	s_delay_alu instid0(VALU_DEP_1) | instskip(SKIP_1) | instid1(VALU_DEP_1)
	v_add_f64_e32 v[0:1], v[5:6], v[0:1]
	v_fma_f64 v[5:6], v[211:212], s[18:19], -v[253:254]
	v_add_f64_e32 v[2:3], v[5:6], v[2:3]
	v_fma_f64 v[5:6], v[217:218], s[12:13], v[11:12]
	v_fma_f64 v[11:12], v[211:212], s[12:13], v[213:214]
	s_delay_alu instid0(VALU_DEP_3) | instskip(NEXT) | instid1(VALU_DEP_3)
	v_add_f64_e32 v[159:160], v[7:8], v[2:3]
	v_add_f64_e32 v[157:158], v[5:6], v[0:1]
	v_fma_f64 v[0:1], v[181:182], s[12:13], v[227:228]
	v_fma_f64 v[2:3], v[187:188], s[12:13], -v[229:230]
	v_fma_f64 v[5:6], v[193:194], s[2:3], v[231:232]
	v_fma_f64 v[7:8], v[223:224], s[18:19], -v[241:242]
	s_delay_alu instid0(VALU_DEP_4) | instskip(NEXT) | instid1(VALU_DEP_4)
	v_add_f64_e32 v[0:1], v[0:1], v[167:168]
	v_add_f64_e32 v[2:3], v[2:3], v[177:178]
	s_delay_alu instid0(VALU_DEP_2) | instskip(SKIP_1) | instid1(VALU_DEP_1)
	v_add_f64_e32 v[0:1], v[5:6], v[0:1]
	v_fma_f64 v[5:6], v[199:200], s[2:3], -v[233:234]
	v_add_f64_e32 v[2:3], v[5:6], v[2:3]
	v_fma_f64 v[5:6], v[205:206], s[14:15], v[235:236]
	s_delay_alu instid0(VALU_DEP_1) | instskip(SKIP_1) | instid1(VALU_DEP_1)
	v_add_f64_e32 v[0:1], v[5:6], v[0:1]
	v_fma_f64 v[5:6], v[211:212], s[14:15], -v[237:238]
	v_add_f64_e32 v[2:3], v[5:6], v[2:3]
	v_fma_f64 v[5:6], v[217:218], s[18:19], v[239:240]
	s_delay_alu instid0(VALU_DEP_2) | instskip(NEXT) | instid1(VALU_DEP_2)
	v_add_f64_e32 v[163:164], v[7:8], v[2:3]
	v_add_f64_e32 v[161:162], v[5:6], v[0:1]
	v_fma_f64 v[0:1], v[181:182], s[16:17], -v[183:184]
	v_fma_f64 v[2:3], v[187:188], s[16:17], v[189:190]
	v_fma_f64 v[5:6], v[193:194], s[14:15], -v[195:196]
	v_fma_f64 v[7:8], v[199:200], s[14:15], v[201:202]
	s_delay_alu instid0(VALU_DEP_4) | instskip(NEXT) | instid1(VALU_DEP_4)
	v_add_f64_e32 v[0:1], v[0:1], v[175:176]
	v_add_f64_e32 v[2:3], v[2:3], v[165:166]
	s_delay_alu instid0(VALU_DEP_2) | instskip(NEXT) | instid1(VALU_DEP_2)
	v_add_f64_e32 v[0:1], v[5:6], v[0:1]
	v_add_f64_e32 v[2:3], v[7:8], v[2:3]
	v_fma_f64 v[5:6], v[217:218], s[2:3], -v[219:220]
	v_fma_f64 v[7:8], v[223:224], s[2:3], v[225:226]
	s_delay_alu instid0(VALU_DEP_4) | instskip(NEXT) | instid1(VALU_DEP_4)
	v_add_f64_e32 v[0:1], v[9:10], v[0:1]
	v_add_f64_e32 v[2:3], v[11:12], v[2:3]
	s_delay_alu instid0(VALU_DEP_2) | instskip(NEXT) | instid1(VALU_DEP_2)
	v_add_f64_e32 v[165:166], v[5:6], v[0:1]
	v_add_f64_e32 v[167:168], v[7:8], v[2:3]
	;; [unrolled: 1-line block ×4, first 2 shown]
	s_delay_alu instid0(VALU_DEP_2) | instskip(NEXT) | instid1(VALU_DEP_2)
	v_add_f64_e32 v[0:1], v[0:1], v[101:102]
	v_add_f64_e32 v[2:3], v[2:3], v[103:104]
	s_delay_alu instid0(VALU_DEP_2) | instskip(NEXT) | instid1(VALU_DEP_2)
	v_add_f64_e32 v[0:1], v[0:1], v[105:106]
	v_add_f64_e32 v[2:3], v[2:3], v[107:108]
	;; [unrolled: 3-line block ×8, first 2 shown]
	ds_store_b128 v126, v[133:136] offset:352
	ds_store_b128 v126, v[137:140] offset:528
	;; [unrolled: 1-line block ×10, first 2 shown]
	ds_store_b128 v126, v[86:89]
	global_wb scope:SCOPE_SE
	s_wait_dscnt 0x0
	s_barrier_signal -1
	s_barrier_wait -1
	global_inv scope:SCOPE_SE
	global_load_b128 v[84:87], v255, s[8:9] offset:1936
	s_add_nc_u64 s[8:9], s[8:9], 0x790
	ds_load_b128 v[88:91], v126
	ds_load_b128 v[92:95], v126 offset:176
	s_clause 0x1
	global_load_b128 v[96:99], v255, s[8:9] offset:176
	global_load_b128 v[101:104], v255, s[8:9] offset:352
	s_wait_loadcnt_dscnt 0x201
	v_mul_f64_e32 v[0:1], v[90:91], v[86:87]
	v_mul_f64_e32 v[2:3], v[88:89], v[86:87]
	s_delay_alu instid0(VALU_DEP_2) | instskip(NEXT) | instid1(VALU_DEP_2)
	v_fma_f64 v[86:87], v[88:89], v[84:85], -v[0:1]
	v_fma_f64 v[88:89], v[90:91], v[84:85], v[2:3]
	s_wait_loadcnt_dscnt 0x100
	v_mul_f64_e32 v[0:1], v[94:95], v[98:99]
	v_mul_f64_e32 v[2:3], v[92:93], v[98:99]
	s_delay_alu instid0(VALU_DEP_2) | instskip(NEXT) | instid1(VALU_DEP_2)
	v_fma_f64 v[90:91], v[92:93], v[96:97], -v[0:1]
	v_fma_f64 v[92:93], v[94:95], v[96:97], v[2:3]
	ds_load_b128 v[94:97], v126 offset:352
	ds_load_b128 v[105:108], v126 offset:528
	s_wait_loadcnt_dscnt 0x1
	v_mul_f64_e32 v[0:1], v[96:97], v[103:104]
	v_mul_f64_e32 v[2:3], v[94:95], v[103:104]
	s_delay_alu instid0(VALU_DEP_2) | instskip(NEXT) | instid1(VALU_DEP_2)
	v_fma_f64 v[94:95], v[94:95], v[101:102], -v[0:1]
	v_fma_f64 v[96:97], v[96:97], v[101:102], v[2:3]
	s_clause 0x1
	global_load_b128 v[101:104], v255, s[8:9] offset:528
	global_load_b128 v[109:112], v255, s[8:9] offset:704
	ds_load_b128 v[113:116], v126 offset:704
	ds_load_b128 v[117:120], v126 offset:880
	s_wait_loadcnt_dscnt 0x102
	v_mul_f64_e32 v[0:1], v[107:108], v[103:104]
	v_mul_f64_e32 v[2:3], v[105:106], v[103:104]
	s_delay_alu instid0(VALU_DEP_2) | instskip(SKIP_2) | instid1(VALU_DEP_3)
	v_fma_f64 v[103:104], v[105:106], v[101:102], -v[0:1]
	s_wait_loadcnt_dscnt 0x1
	v_mul_f64_e32 v[0:1], v[115:116], v[111:112]
	v_fma_f64 v[105:106], v[107:108], v[101:102], v[2:3]
	v_mul_f64_e32 v[2:3], v[113:114], v[111:112]
	s_delay_alu instid0(VALU_DEP_3)
	v_fma_f64 v[107:108], v[113:114], v[109:110], -v[0:1]
	s_clause 0x1
	global_load_b128 v[111:114], v255, s[8:9] offset:880
	global_load_b128 v[121:124], v255, s[8:9] offset:1056
	v_fma_f64 v[109:110], v[115:116], v[109:110], v[2:3]
	s_wait_loadcnt_dscnt 0x100
	v_mul_f64_e32 v[0:1], v[119:120], v[113:114]
	v_mul_f64_e32 v[2:3], v[117:118], v[113:114]
	s_delay_alu instid0(VALU_DEP_2) | instskip(NEXT) | instid1(VALU_DEP_2)
	v_fma_f64 v[113:114], v[117:118], v[111:112], -v[0:1]
	v_fma_f64 v[115:116], v[119:120], v[111:112], v[2:3]
	ds_load_b128 v[117:120], v126 offset:1056
	ds_load_b128 v[129:132], v126 offset:1232
	s_wait_loadcnt_dscnt 0x1
	v_mul_f64_e32 v[0:1], v[119:120], v[123:124]
	v_mul_f64_e32 v[2:3], v[117:118], v[123:124]
	s_delay_alu instid0(VALU_DEP_2) | instskip(NEXT) | instid1(VALU_DEP_2)
	v_fma_f64 v[117:118], v[117:118], v[121:122], -v[0:1]
	v_fma_f64 v[119:120], v[119:120], v[121:122], v[2:3]
	s_clause 0x1
	global_load_b128 v[121:124], v255, s[8:9] offset:1232
	global_load_b128 v[133:136], v255, s[8:9] offset:1408
	s_wait_loadcnt_dscnt 0x100
	v_mul_f64_e32 v[0:1], v[131:132], v[123:124]
	v_mul_f64_e32 v[2:3], v[129:130], v[123:124]
	s_delay_alu instid0(VALU_DEP_2) | instskip(NEXT) | instid1(VALU_DEP_2)
	v_fma_f64 v[129:130], v[129:130], v[121:122], -v[0:1]
	v_fma_f64 v[131:132], v[131:132], v[121:122], v[2:3]
	ds_load_b128 v[121:124], v126 offset:1408
	ds_load_b128 v[137:140], v126 offset:1584
	s_wait_loadcnt_dscnt 0x1
	v_mul_f64_e32 v[0:1], v[123:124], v[135:136]
	v_mul_f64_e32 v[2:3], v[121:122], v[135:136]
	s_delay_alu instid0(VALU_DEP_2) | instskip(NEXT) | instid1(VALU_DEP_2)
	v_fma_f64 v[121:122], v[121:122], v[133:134], -v[0:1]
	v_fma_f64 v[123:124], v[123:124], v[133:134], v[2:3]
	s_clause 0x1
	global_load_b128 v[133:136], v255, s[8:9] offset:1584
	global_load_b128 v[141:144], v255, s[8:9] offset:1760
	ds_load_b128 v[145:148], v126 offset:1760
	s_mov_b32 s9, 0x3fe82f19
	s_mov_b32 s8, s20
	s_wait_loadcnt_dscnt 0x101
	v_mul_f64_e32 v[0:1], v[139:140], v[135:136]
	v_mul_f64_e32 v[2:3], v[137:138], v[135:136]
	s_delay_alu instid0(VALU_DEP_2) | instskip(NEXT) | instid1(VALU_DEP_2)
	v_fma_f64 v[135:136], v[137:138], v[133:134], -v[0:1]
	v_fma_f64 v[137:138], v[139:140], v[133:134], v[2:3]
	s_wait_loadcnt_dscnt 0x0
	v_mul_f64_e32 v[0:1], v[147:148], v[143:144]
	v_mul_f64_e32 v[2:3], v[145:146], v[143:144]
	s_delay_alu instid0(VALU_DEP_2) | instskip(NEXT) | instid1(VALU_DEP_2)
	v_fma_f64 v[139:140], v[145:146], v[141:142], -v[0:1]
	v_fma_f64 v[141:142], v[147:148], v[141:142], v[2:3]
	ds_store_b128 v126, v[86:89]
	ds_store_b128 v126, v[90:93] offset:176
	ds_store_b128 v126, v[94:97] offset:352
	ds_store_b128 v126, v[103:106] offset:528
	ds_store_b128 v126, v[107:110] offset:704
	ds_store_b128 v126, v[113:116] offset:880
	ds_store_b128 v126, v[117:120] offset:1056
	ds_store_b128 v126, v[129:132] offset:1232
	ds_store_b128 v126, v[121:124] offset:1408
	ds_store_b128 v126, v[135:138] offset:1584
	ds_store_b128 v126, v[139:142] offset:1760
	global_wb scope:SCOPE_SE
	s_wait_dscnt 0x0
	s_barrier_signal -1
	s_barrier_wait -1
	global_inv scope:SCOPE_SE
	ds_load_b128 v[84:87], v126
	ds_load_b128 v[88:91], v126 offset:176
	ds_load_b128 v[92:95], v126 offset:352
	;; [unrolled: 1-line block ×7, first 2 shown]
	s_wait_dscnt 0x6
	v_add_f64_e32 v[0:1], v[84:85], v[88:89]
	v_add_f64_e32 v[2:3], v[86:87], v[90:91]
	s_wait_dscnt 0x1
	v_add_f64_e32 v[101:102], v[103:104], v[111:112]
	v_add_f64_e32 v[5:6], v[105:106], v[113:114]
	v_add_f64_e64 v[7:8], v[105:106], -v[113:114]
	s_wait_dscnt 0x0
	v_add_f64_e32 v[9:10], v[109:110], v[117:118]
	v_add_f64_e64 v[11:12], v[109:110], -v[117:118]
	v_add_f64_e32 v[0:1], v[0:1], v[92:93]
	v_add_f64_e32 v[2:3], v[2:3], v[94:95]
	v_mul_f64_e32 v[189:190], s[18:19], v[5:6]
	v_mul_f64_e32 v[173:174], s[24:25], v[7:8]
	;; [unrolled: 1-line block ×18, first 2 shown]
	v_add_f64_e32 v[0:1], v[0:1], v[96:97]
	v_add_f64_e32 v[2:3], v[2:3], v[98:99]
	s_delay_alu instid0(VALU_DEP_2) | instskip(NEXT) | instid1(VALU_DEP_2)
	v_add_f64_e32 v[0:1], v[0:1], v[107:108]
	v_add_f64_e32 v[2:3], v[2:3], v[109:110]
	s_delay_alu instid0(VALU_DEP_2) | instskip(NEXT) | instid1(VALU_DEP_2)
	v_add_f64_e32 v[0:1], v[0:1], v[103:104]
	v_add_f64_e32 v[2:3], v[2:3], v[105:106]
	v_add_f64_e64 v[103:104], v[103:104], -v[111:112]
	v_add_f64_e32 v[105:106], v[107:108], v[115:116]
	v_add_f64_e64 v[107:108], v[107:108], -v[115:116]
	v_add_f64_e32 v[0:1], v[0:1], v[111:112]
	v_add_f64_e32 v[2:3], v[2:3], v[113:114]
	s_delay_alu instid0(VALU_DEP_2) | instskip(NEXT) | instid1(VALU_DEP_2)
	v_add_f64_e32 v[0:1], v[0:1], v[115:116]
	v_add_f64_e32 v[2:3], v[2:3], v[117:118]
	ds_load_b128 v[109:112], v126 offset:1408
	ds_load_b128 v[113:116], v126 offset:1584
	s_wait_dscnt 0x1
	v_add_f64_e64 v[13:14], v[98:99], -v[111:112]
	s_wait_dscnt 0x0
	v_add_f64_e64 v[119:120], v[94:95], -v[115:116]
	v_add_f64_e32 v[121:122], v[94:95], v[115:116]
	v_add_f64_e32 v[139:140], v[92:93], v[113:114]
	v_add_f64_e64 v[141:142], v[92:93], -v[113:114]
	ds_load_b128 v[92:95], v126 offset:1760
	v_add_f64_e32 v[117:118], v[98:99], v[111:112]
	v_add_f64_e32 v[127:128], v[96:97], v[109:110]
	v_add_f64_e64 v[137:138], v[96:97], -v[109:110]
	global_wb scope:SCOPE_SE
	s_wait_dscnt 0x0
	s_barrier_signal -1
	s_barrier_wait -1
	global_inv scope:SCOPE_SE
	v_add_f64_e32 v[0:1], v[0:1], v[109:110]
	v_add_f64_e32 v[2:3], v[2:3], v[111:112]
	v_add_f64_e64 v[96:97], v[90:91], -v[94:95]
	v_add_f64_e32 v[98:99], v[90:91], v[94:95]
	v_add_f64_e32 v[109:110], v[88:89], v[92:93]
	v_add_f64_e64 v[111:112], v[88:89], -v[92:93]
	v_mul_f64_e32 v[165:166], s[26:27], v[13:14]
	v_mul_f64_e32 v[161:162], s[28:29], v[119:120]
	;; [unrolled: 1-line block ×14, first 2 shown]
	v_add_f64_e32 v[0:1], v[0:1], v[113:114]
	v_add_f64_e32 v[2:3], v[2:3], v[115:116]
	v_mul_f64_e32 v[133:134], s[16:17], v[98:99]
	v_mul_f64_e32 v[135:136], s[14:15], v[98:99]
	;; [unrolled: 1-line block ×3, first 2 shown]
	v_add_f64_e32 v[88:89], v[0:1], v[92:93]
	v_add_f64_e32 v[90:91], v[2:3], v[94:95]
	v_mul_f64_e32 v[0:1], s[22:23], v[96:97]
	v_mul_f64_e32 v[2:3], s[28:29], v[96:97]
	;; [unrolled: 1-line block ×5, first 2 shown]
	v_fma_f64 v[147:148], v[111:112], s[38:39], v[133:134]
	v_fma_f64 v[149:150], v[111:112], s[34:35], v[135:136]
	;; [unrolled: 1-line block ×7, first 2 shown]
	v_fma_f64 v[0:1], v[109:110], s[18:19], -v[0:1]
	v_fma_f64 v[115:116], v[109:110], s[16:17], v[2:3]
	v_fma_f64 v[2:3], v[109:110], s[16:17], -v[2:3]
	v_fma_f64 v[123:124], v[109:110], s[14:15], v[92:93]
	v_fma_f64 v[92:93], v[109:110], s[14:15], -v[92:93]
	v_fma_f64 v[129:130], v[109:110], s[12:13], v[94:95]
	v_fma_f64 v[94:95], v[109:110], s[12:13], -v[94:95]
	v_fma_f64 v[131:132], v[109:110], s[2:3], v[96:97]
	v_fma_f64 v[96:97], v[109:110], s[2:3], -v[96:97]
	v_mul_f64_e32 v[109:110], s[18:19], v[98:99]
	v_mul_f64_e32 v[98:99], s[2:3], v[98:99]
	v_add_f64_e32 v[133:134], v[86:87], v[133:134]
	v_add_f64_e32 v[135:136], v[86:87], v[135:136]
	v_add_f64_e32 v[143:144], v[86:87], v[143:144]
	v_add_f64_e32 v[155:156], v[84:85], v[113:114]
	v_add_f64_e32 v[0:1], v[84:85], v[0:1]
	v_add_f64_e32 v[113:114], v[86:87], v[147:148]
	v_add_f64_e32 v[2:3], v[84:85], v[2:3]
	v_add_f64_e32 v[147:148], v[84:85], v[92:93]
	v_add_f64_e32 v[129:130], v[84:85], v[129:130]
	v_add_f64_e32 v[131:132], v[84:85], v[131:132]
	v_add_f64_e32 v[157:158], v[84:85], v[96:97]
	v_fma_f64 v[145:146], v[111:112], s[36:37], v[109:110]
	v_fma_f64 v[109:110], v[111:112], s[22:23], v[109:110]
	;; [unrolled: 1-line block ×4, first 2 shown]
	v_add_f64_e32 v[111:112], v[84:85], v[115:116]
	v_add_f64_e32 v[115:116], v[84:85], v[123:124]
	;; [unrolled: 1-line block ×5, first 2 shown]
	v_fma_f64 v[84:85], v[139:140], s[16:17], -v[161:162]
	v_fma_f64 v[94:95], v[141:142], s[8:9], v[177:178]
	v_fma_f64 v[96:97], v[127:128], s[2:3], v[179:180]
	v_add_f64_e32 v[145:146], v[86:87], v[145:146]
	v_add_f64_e32 v[109:110], v[86:87], v[109:110]
	;; [unrolled: 1-line block ×4, first 2 shown]
	v_fma_f64 v[86:87], v[127:128], s[14:15], -v[165:166]
	v_fma_f64 v[98:99], v[141:142], s[24:25], v[193:194]
	v_add_f64_e32 v[0:1], v[84:85], v[0:1]
	v_fma_f64 v[84:85], v[141:142], s[28:29], v[163:164]
	v_add_f64_e32 v[94:95], v[94:95], v[113:114]
	s_delay_alu instid0(VALU_DEP_4)
	v_add_f64_e32 v[98:99], v[98:99], v[123:124]
	v_mul_f64_e32 v[123:124], s[34:35], v[119:120]
	v_mul_f64_e32 v[119:120], s[36:37], v[119:120]
	v_add_f64_e32 v[0:1], v[86:87], v[0:1]
	v_add_f64_e32 v[84:85], v[84:85], v[109:110]
	v_fma_f64 v[86:87], v[137:138], s[26:27], v[167:168]
	v_fma_f64 v[109:110], v[127:128], s[16:17], v[195:196]
	s_delay_alu instid0(VALU_DEP_2) | instskip(SKIP_1) | instid1(VALU_DEP_1)
	v_add_f64_e32 v[84:85], v[86:87], v[84:85]
	v_fma_f64 v[86:87], v[105:106], s[12:13], -v[169:170]
	v_add_f64_e32 v[0:1], v[86:87], v[0:1]
	v_fma_f64 v[86:87], v[107:108], s[20:21], v[171:172]
	s_delay_alu instid0(VALU_DEP_1) | instskip(SKIP_1) | instid1(VALU_DEP_1)
	v_add_f64_e32 v[86:87], v[86:87], v[84:85]
	v_fma_f64 v[84:85], v[101:102], s[2:3], -v[173:174]
	v_add_f64_e32 v[84:85], v[84:85], v[0:1]
	v_mul_f64_e32 v[0:1], s[2:3], v[5:6]
	v_mul_f64_e32 v[5:6], s[14:15], v[5:6]
	s_delay_alu instid0(VALU_DEP_2) | instskip(SKIP_1) | instid1(VALU_DEP_2)
	v_fma_f64 v[92:93], v[103:104], s[24:25], v[0:1]
	v_fma_f64 v[0:1], v[103:104], s[30:31], v[0:1]
	v_add_f64_e32 v[86:87], v[92:93], v[86:87]
	v_fma_f64 v[92:93], v[139:140], s[12:13], v[175:176]
	s_delay_alu instid0(VALU_DEP_1) | instskip(NEXT) | instid1(VALU_DEP_1)
	v_add_f64_e32 v[92:93], v[92:93], v[111:112]
	v_add_f64_e32 v[92:93], v[96:97], v[92:93]
	v_fma_f64 v[96:97], v[137:138], s[24:25], v[181:182]
	s_delay_alu instid0(VALU_DEP_1) | instskip(SKIP_1) | instid1(VALU_DEP_1)
	v_add_f64_e32 v[94:95], v[96:97], v[94:95]
	v_fma_f64 v[96:97], v[105:106], s[14:15], v[183:184]
	v_add_f64_e32 v[92:93], v[96:97], v[92:93]
	v_fma_f64 v[96:97], v[107:108], s[26:27], v[185:186]
	s_delay_alu instid0(VALU_DEP_1) | instskip(SKIP_1) | instid1(VALU_DEP_1)
	v_add_f64_e32 v[94:95], v[96:97], v[94:95]
	v_fma_f64 v[96:97], v[101:102], s[18:19], v[187:188]
	;; [unrolled: 5-line block ×3, first 2 shown]
	v_add_f64_e32 v[96:97], v[96:97], v[115:116]
	s_delay_alu instid0(VALU_DEP_1) | instskip(SKIP_1) | instid1(VALU_DEP_1)
	v_add_f64_e32 v[96:97], v[109:110], v[96:97]
	v_fma_f64 v[109:110], v[137:138], s[28:29], v[197:198]
	v_add_f64_e32 v[98:99], v[109:110], v[98:99]
	v_fma_f64 v[109:110], v[105:106], s[18:19], v[199:200]
	s_delay_alu instid0(VALU_DEP_1) | instskip(SKIP_1) | instid1(VALU_DEP_1)
	v_add_f64_e32 v[96:97], v[109:110], v[96:97]
	v_fma_f64 v[109:110], v[107:108], s[36:37], v[201:202]
	v_add_f64_e32 v[98:99], v[109:110], v[98:99]
	v_fma_f64 v[109:110], v[101:102], s[12:13], v[203:204]
	;; [unrolled: 5-line block ×3, first 2 shown]
	s_delay_alu instid0(VALU_DEP_1) | instskip(SKIP_2) | instid1(VALU_DEP_2)
	v_add_f64_e32 v[109:110], v[109:110], v[129:130]
	v_mul_f64_e32 v[129:130], s[14:15], v[121:122]
	v_mul_f64_e32 v[121:122], s[18:19], v[121:122]
	v_fma_f64 v[111:112], v[141:142], s[26:27], v[129:130]
	s_delay_alu instid0(VALU_DEP_2) | instskip(SKIP_1) | instid1(VALU_DEP_3)
	v_fma_f64 v[115:116], v[141:142], s[22:23], v[121:122]
	v_fma_f64 v[121:122], v[141:142], s[36:37], v[121:122]
	v_add_f64_e32 v[111:112], v[111:112], v[149:150]
	v_mul_f64_e32 v[149:150], s[22:23], v[13:14]
	v_mul_f64_e32 v[13:14], s[20:21], v[13:14]
	v_add_f64_e32 v[115:116], v[115:116], v[153:154]
	v_add_f64_e32 v[121:122], v[121:122], v[159:160]
	s_delay_alu instid0(VALU_DEP_4) | instskip(NEXT) | instid1(VALU_DEP_1)
	v_fma_f64 v[113:114], v[127:128], s[18:19], v[149:150]
	v_add_f64_e32 v[109:110], v[113:114], v[109:110]
	v_fma_f64 v[113:114], v[137:138], s[36:37], v[207:208]
	s_delay_alu instid0(VALU_DEP_1) | instskip(SKIP_1) | instid1(VALU_DEP_1)
	v_add_f64_e32 v[111:112], v[113:114], v[111:112]
	v_fma_f64 v[113:114], v[105:106], s[2:3], v[209:210]
	v_add_f64_e32 v[109:110], v[113:114], v[109:110]
	v_fma_f64 v[113:114], v[107:108], s[30:31], v[211:212]
	s_delay_alu instid0(VALU_DEP_1) | instskip(SKIP_1) | instid1(VALU_DEP_1)
	v_add_f64_e32 v[111:112], v[113:114], v[111:112]
	v_fma_f64 v[113:114], v[101:102], s[16:17], v[213:214]
	v_add_f64_e32 v[109:110], v[113:114], v[109:110]
	v_fma_f64 v[113:114], v[103:104], s[28:29], v[215:216]
	s_delay_alu instid0(VALU_DEP_1) | instskip(SKIP_2) | instid1(VALU_DEP_2)
	v_add_f64_e32 v[111:112], v[113:114], v[111:112]
	v_fma_f64 v[113:114], v[139:140], s[18:19], v[119:120]
	v_fma_f64 v[119:120], v[139:140], s[18:19], -v[119:120]
	v_add_f64_e32 v[113:114], v[113:114], v[131:132]
	v_fma_f64 v[131:132], v[127:128], s[12:13], v[13:14]
	s_delay_alu instid0(VALU_DEP_3) | instskip(SKIP_1) | instid1(VALU_DEP_3)
	v_add_f64_e32 v[119:120], v[119:120], v[157:158]
	v_fma_f64 v[13:14], v[127:128], s[12:13], -v[13:14]
	v_add_f64_e32 v[113:114], v[131:132], v[113:114]
	v_fma_f64 v[131:132], v[137:138], s[8:9], v[117:118]
	v_fma_f64 v[117:118], v[137:138], s[20:21], v[117:118]
	s_delay_alu instid0(VALU_DEP_4) | instskip(NEXT) | instid1(VALU_DEP_3)
	v_add_f64_e32 v[13:14], v[13:14], v[119:120]
	v_add_f64_e32 v[115:116], v[131:132], v[115:116]
	v_fma_f64 v[131:132], v[105:106], s[16:17], v[11:12]
	s_delay_alu instid0(VALU_DEP_4) | instskip(SKIP_1) | instid1(VALU_DEP_3)
	v_add_f64_e32 v[117:118], v[117:118], v[121:122]
	v_fma_f64 v[11:12], v[105:106], s[16:17], -v[11:12]
	v_add_f64_e32 v[113:114], v[131:132], v[113:114]
	v_fma_f64 v[131:132], v[107:108], s[28:29], v[9:10]
	v_fma_f64 v[9:10], v[107:108], s[38:39], v[9:10]
	s_delay_alu instid0(VALU_DEP_4) | instskip(SKIP_1) | instid1(VALU_DEP_4)
	v_add_f64_e32 v[11:12], v[11:12], v[13:14]
	v_fma_f64 v[13:14], v[107:108], s[8:9], v[171:172]
	v_add_f64_e32 v[115:116], v[131:132], v[115:116]
	v_fma_f64 v[131:132], v[101:102], s[14:15], v[7:8]
	v_add_f64_e32 v[9:10], v[9:10], v[117:118]
	v_fma_f64 v[7:8], v[101:102], s[14:15], -v[7:8]
	s_delay_alu instid0(VALU_DEP_3) | instskip(SKIP_2) | instid1(VALU_DEP_4)
	v_add_f64_e32 v[113:114], v[131:132], v[113:114]
	v_fma_f64 v[131:132], v[103:104], s[34:35], v[5:6]
	v_fma_f64 v[5:6], v[103:104], s[26:27], v[5:6]
	v_add_f64_e32 v[117:118], v[7:8], v[11:12]
	v_fma_f64 v[7:8], v[141:142], s[34:35], v[129:130]
	v_fma_f64 v[11:12], v[103:104], s[38:39], v[215:216]
	v_add_f64_e32 v[115:116], v[131:132], v[115:116]
	v_add_f64_e32 v[119:120], v[5:6], v[9:10]
	v_fma_f64 v[5:6], v[139:140], s[14:15], -v[123:124]
	v_fma_f64 v[9:10], v[127:128], s[18:19], -v[149:150]
	v_add_f64_e32 v[7:8], v[7:8], v[143:144]
	s_delay_alu instid0(VALU_DEP_3) | instskip(NEXT) | instid1(VALU_DEP_1)
	v_add_f64_e32 v[5:6], v[5:6], v[151:152]
	v_add_f64_e32 v[5:6], v[9:10], v[5:6]
	v_fma_f64 v[9:10], v[137:138], s[22:23], v[207:208]
	s_delay_alu instid0(VALU_DEP_1) | instskip(SKIP_1) | instid1(VALU_DEP_1)
	v_add_f64_e32 v[7:8], v[9:10], v[7:8]
	v_fma_f64 v[9:10], v[105:106], s[2:3], -v[209:210]
	v_add_f64_e32 v[5:6], v[9:10], v[5:6]
	v_fma_f64 v[9:10], v[107:108], s[24:25], v[211:212]
	s_delay_alu instid0(VALU_DEP_1) | instskip(SKIP_1) | instid1(VALU_DEP_2)
	v_add_f64_e32 v[7:8], v[9:10], v[7:8]
	v_fma_f64 v[9:10], v[101:102], s[16:17], -v[213:214]
	v_add_f64_e32 v[123:124], v[11:12], v[7:8]
	s_delay_alu instid0(VALU_DEP_2) | instskip(SKIP_4) | instid1(VALU_DEP_4)
	v_add_f64_e32 v[121:122], v[9:10], v[5:6]
	v_fma_f64 v[5:6], v[139:140], s[2:3], -v[191:192]
	v_fma_f64 v[7:8], v[141:142], s[30:31], v[193:194]
	v_fma_f64 v[9:10], v[127:128], s[16:17], -v[195:196]
	v_fma_f64 v[11:12], v[103:104], s[20:21], v[205:206]
	v_add_f64_e32 v[5:6], v[5:6], v[147:148]
	s_delay_alu instid0(VALU_DEP_4) | instskip(NEXT) | instid1(VALU_DEP_2)
	v_add_f64_e32 v[7:8], v[7:8], v[135:136]
	v_add_f64_e32 v[5:6], v[9:10], v[5:6]
	v_fma_f64 v[9:10], v[137:138], s[38:39], v[197:198]
	s_delay_alu instid0(VALU_DEP_1) | instskip(SKIP_1) | instid1(VALU_DEP_1)
	v_add_f64_e32 v[7:8], v[9:10], v[7:8]
	v_fma_f64 v[9:10], v[105:106], s[18:19], -v[199:200]
	v_add_f64_e32 v[5:6], v[9:10], v[5:6]
	v_fma_f64 v[9:10], v[107:108], s[22:23], v[201:202]
	s_delay_alu instid0(VALU_DEP_1) | instskip(SKIP_1) | instid1(VALU_DEP_2)
	v_add_f64_e32 v[7:8], v[9:10], v[7:8]
	v_fma_f64 v[9:10], v[101:102], s[12:13], -v[203:204]
	v_add_f64_e32 v[131:132], v[11:12], v[7:8]
	s_delay_alu instid0(VALU_DEP_2) | instskip(SKIP_4) | instid1(VALU_DEP_4)
	v_add_f64_e32 v[129:130], v[9:10], v[5:6]
	v_fma_f64 v[5:6], v[139:140], s[12:13], -v[175:176]
	v_fma_f64 v[7:8], v[127:128], s[2:3], -v[179:180]
	v_fma_f64 v[9:10], v[103:104], s[36:37], v[189:190]
	v_fma_f64 v[11:12], v[105:106], s[12:13], v[169:170]
	v_add_f64_e32 v[2:3], v[5:6], v[2:3]
	v_fma_f64 v[5:6], v[141:142], s[20:21], v[177:178]
	s_delay_alu instid0(VALU_DEP_2) | instskip(NEXT) | instid1(VALU_DEP_2)
	v_add_f64_e32 v[2:3], v[7:8], v[2:3]
	v_add_f64_e32 v[5:6], v[5:6], v[133:134]
	v_fma_f64 v[7:8], v[137:138], s[30:31], v[181:182]
	s_delay_alu instid0(VALU_DEP_1) | instskip(SKIP_1) | instid1(VALU_DEP_1)
	v_add_f64_e32 v[5:6], v[7:8], v[5:6]
	v_fma_f64 v[7:8], v[105:106], s[14:15], -v[183:184]
	v_add_f64_e32 v[2:3], v[7:8], v[2:3]
	v_fma_f64 v[7:8], v[107:108], s[34:35], v[185:186]
	s_delay_alu instid0(VALU_DEP_1) | instskip(SKIP_1) | instid1(VALU_DEP_2)
	v_add_f64_e32 v[5:6], v[7:8], v[5:6]
	v_fma_f64 v[7:8], v[101:102], s[18:19], -v[187:188]
	v_add_f64_e32 v[135:136], v[9:10], v[5:6]
	s_delay_alu instid0(VALU_DEP_2) | instskip(SKIP_4) | instid1(VALU_DEP_4)
	v_add_f64_e32 v[133:134], v[7:8], v[2:3]
	v_fma_f64 v[2:3], v[139:140], s[16:17], v[161:162]
	v_fma_f64 v[5:6], v[141:142], s[38:39], v[163:164]
	;; [unrolled: 1-line block ×4, first 2 shown]
	v_add_f64_e32 v[2:3], v[2:3], v[155:156]
	s_delay_alu instid0(VALU_DEP_4) | instskip(NEXT) | instid1(VALU_DEP_2)
	v_add_f64_e32 v[5:6], v[5:6], v[145:146]
	v_add_f64_e32 v[2:3], v[7:8], v[2:3]
	s_delay_alu instid0(VALU_DEP_2) | instskip(SKIP_1) | instid1(VALU_DEP_3)
	v_add_f64_e32 v[5:6], v[9:10], v[5:6]
	v_fma_f64 v[7:8], v[101:102], s[2:3], v[173:174]
	v_add_f64_e32 v[2:3], v[11:12], v[2:3]
	s_delay_alu instid0(VALU_DEP_3) | instskip(NEXT) | instid1(VALU_DEP_2)
	v_add_f64_e32 v[5:6], v[13:14], v[5:6]
	v_add_f64_e32 v[101:102], v[7:8], v[2:3]
	s_delay_alu instid0(VALU_DEP_2)
	v_add_f64_e32 v[103:104], v[0:1], v[5:6]
	ds_store_b128 v4, v[92:95] offset:32
	ds_store_b128 v4, v[96:99] offset:48
	;; [unrolled: 1-line block ×10, first 2 shown]
	ds_store_b128 v4, v[88:91]
	global_wb scope:SCOPE_SE
	s_wait_dscnt 0x0
	s_barrier_signal -1
	s_barrier_wait -1
	global_inv scope:SCOPE_SE
	ds_load_b128 v[84:87], v126 offset:176
	ds_load_b128 v[88:91], v126
	s_wait_dscnt 0x1
	v_mul_f64_e32 v[0:1], v[46:47], v[86:87]
	v_mul_f64_e32 v[2:3], v[46:47], v[84:85]
	s_delay_alu instid0(VALU_DEP_2) | instskip(NEXT) | instid1(VALU_DEP_2)
	v_fma_f64 v[0:1], v[44:45], v[84:85], v[0:1]
	v_fma_f64 v[2:3], v[44:45], v[86:87], -v[2:3]
	ds_load_b128 v[44:47], v126 offset:352
	ds_load_b128 v[84:87], v126 offset:528
	s_wait_dscnt 0x1
	v_mul_f64_e32 v[4:5], v[50:51], v[44:45]
	v_mul_f64_e32 v[6:7], v[50:51], v[46:47]
	s_wait_dscnt 0x0
	v_mul_f64_e32 v[14:15], v[82:83], v[86:87]
	v_mul_f64_e32 v[12:13], v[82:83], v[84:85]
	s_delay_alu instid0(VALU_DEP_4) | instskip(NEXT) | instid1(VALU_DEP_4)
	v_fma_f64 v[4:5], v[48:49], v[46:47], -v[4:5]
	v_fma_f64 v[6:7], v[48:49], v[44:45], v[6:7]
	ds_load_b128 v[44:47], v126 offset:1760
	v_fma_f64 v[14:15], v[80:81], v[84:85], v[14:15]
	v_fma_f64 v[12:13], v[80:81], v[86:87], -v[12:13]
	s_wait_dscnt 0x0
	v_mul_f64_e32 v[8:9], v[66:67], v[44:45]
	v_mul_f64_e32 v[10:11], v[66:67], v[46:47]
	s_delay_alu instid0(VALU_DEP_2) | instskip(NEXT) | instid1(VALU_DEP_2)
	v_fma_f64 v[8:9], v[64:65], v[46:47], -v[8:9]
	v_fma_f64 v[10:11], v[64:65], v[44:45], v[10:11]
	ds_load_b128 v[44:47], v126 offset:1584
	ds_load_b128 v[48:51], v126 offset:1408
	s_wait_dscnt 0x1
	v_mul_f64_e32 v[64:65], v[54:55], v[44:45]
	s_delay_alu instid0(VALU_DEP_1) | instskip(SKIP_1) | instid1(VALU_DEP_2)
	v_fma_f64 v[84:85], v[52:53], v[46:47], -v[64:65]
	v_mul_f64_e32 v[46:47], v[54:55], v[46:47]
	v_add_f64_e64 v[119:120], v[4:5], -v[84:85]
	s_delay_alu instid0(VALU_DEP_2) | instskip(SKIP_3) | instid1(VALU_DEP_4)
	v_fma_f64 v[86:87], v[52:53], v[44:45], v[46:47]
	s_wait_dscnt 0x0
	v_mul_f64_e32 v[44:45], v[78:79], v[48:49]
	v_add_f64_e32 v[127:128], v[4:5], v[84:85]
	v_mul_f64_e32 v[123:124], s[28:29], v[119:120]
	s_delay_alu instid0(VALU_DEP_4) | instskip(NEXT) | instid1(VALU_DEP_4)
	v_add_f64_e32 v[121:122], v[6:7], v[86:87]
	v_fma_f64 v[92:93], v[76:77], v[50:51], -v[44:45]
	v_mul_f64_e32 v[44:45], v[78:79], v[50:51]
	v_add_f64_e64 v[129:130], v[6:7], -v[86:87]
	v_mul_f64_e32 v[131:132], s[16:17], v[127:128]
	v_mul_f64_e32 v[169:170], s[20:21], v[119:120]
	;; [unrolled: 1-line block ×6, first 2 shown]
	v_add_f64_e64 v[133:134], v[12:13], -v[92:93]
	v_fma_f64 v[94:95], v[76:77], v[48:49], v[44:45]
	ds_load_b128 v[44:47], v126 offset:704
	ds_load_b128 v[48:51], v126 offset:880
	v_add_f64_e32 v[139:140], v[12:13], v[92:93]
	s_wait_dscnt 0x1
	v_mul_f64_e32 v[52:53], v[58:59], v[46:47]
	v_mul_f64_e32 v[137:138], s[26:27], v[133:134]
	v_add_f64_e32 v[135:136], v[14:15], v[94:95]
	v_add_f64_e64 v[141:142], v[14:15], -v[94:95]
	v_mul_f64_e32 v[143:144], s[14:15], v[139:140]
	v_mul_f64_e32 v[173:174], s[30:31], v[133:134]
	;; [unrolled: 1-line block ×6, first 2 shown]
	v_fma_f64 v[96:97], v[56:57], v[44:45], v[52:53]
	v_mul_f64_e32 v[44:45], v[58:59], v[44:45]
	s_delay_alu instid0(VALU_DEP_1) | instskip(SKIP_4) | instid1(VALU_DEP_1)
	v_fma_f64 v[98:99], v[56:57], v[46:47], -v[44:45]
	ds_load_b128 v[44:47], v126 offset:1232
	ds_load_b128 v[52:55], v126 offset:1056
	s_wait_dscnt 0x1
	v_mul_f64_e32 v[56:57], v[62:63], v[46:47]
	v_fma_f64 v[101:102], v[60:61], v[44:45], v[56:57]
	v_mul_f64_e32 v[44:45], v[62:63], v[44:45]
	s_delay_alu instid0(VALU_DEP_2) | instskip(NEXT) | instid1(VALU_DEP_2)
	v_add_f64_e32 v[147:148], v[96:97], v[101:102]
	v_fma_f64 v[103:104], v[60:61], v[46:47], -v[44:45]
	v_mul_f64_e32 v[44:45], v[74:75], v[50:51]
	v_add_f64_e64 v[153:154], v[96:97], -v[101:102]
	s_delay_alu instid0(VALU_DEP_3) | instskip(NEXT) | instid1(VALU_DEP_3)
	v_add_f64_e64 v[145:146], v[98:99], -v[103:104]
	v_fma_f64 v[105:106], v[72:73], v[48:49], v[44:45]
	v_mul_f64_e32 v[44:45], v[74:75], v[48:49]
	v_add_f64_e64 v[74:75], v[0:1], -v[10:11]
	v_add_f64_e32 v[151:152], v[98:99], v[103:104]
	v_mul_f64_e32 v[149:150], s[20:21], v[145:146]
	v_mul_f64_e32 v[177:178], s[34:35], v[145:146]
	v_fma_f64 v[107:108], v[72:73], v[50:51], -v[44:45]
	s_wait_dscnt 0x0
	v_mul_f64_e32 v[44:45], v[70:71], v[54:55]
	v_mul_f64_e32 v[155:156], s[12:13], v[151:152]
	;; [unrolled: 1-line block ×7, first 2 shown]
	v_fma_f64 v[109:110], v[68:69], v[52:53], v[44:45]
	v_mul_f64_e32 v[44:45], v[70:71], v[52:53]
	s_delay_alu instid0(VALU_DEP_2) | instskip(NEXT) | instid1(VALU_DEP_2)
	v_add_f64_e32 v[159:160], v[105:106], v[109:110]
	v_fma_f64 v[111:112], v[68:69], v[54:55], -v[44:45]
	v_add_f64_e64 v[44:45], v[2:3], -v[8:9]
	v_add_f64_e32 v[54:55], v[0:1], v[10:11]
	v_add_f64_e32 v[0:1], v[88:89], v[0:1]
	v_add_f64_e64 v[165:166], v[105:106], -v[109:110]
	v_add_f64_e64 v[157:158], v[107:108], -v[111:112]
	v_mul_f64_e32 v[46:47], s[22:23], v[44:45]
	v_mul_f64_e32 v[48:49], s[28:29], v[44:45]
	;; [unrolled: 1-line block ×5, first 2 shown]
	v_add_f64_e32 v[163:164], v[107:108], v[111:112]
	v_add_f64_e32 v[0:1], v[0:1], v[6:7]
	v_mul_f64_e32 v[161:162], s[24:25], v[157:158]
	v_fma_f64 v[56:57], v[54:55], s[18:19], v[46:47]
	v_fma_f64 v[46:47], v[54:55], s[18:19], -v[46:47]
	v_fma_f64 v[58:59], v[54:55], s[16:17], v[48:49]
	v_fma_f64 v[48:49], v[54:55], s[16:17], -v[48:49]
	;; [unrolled: 2-line block ×5, first 2 shown]
	v_add_f64_e32 v[54:55], v[2:3], v[8:9]
	v_mul_f64_e32 v[167:168], s[2:3], v[163:164]
	v_mul_f64_e32 v[181:182], s[36:37], v[157:158]
	;; [unrolled: 1-line block ×3, first 2 shown]
	v_add_f64_e32 v[2:3], v[90:91], v[2:3]
	v_mul_f64_e32 v[197:198], s[20:21], v[157:158]
	v_mul_f64_e32 v[199:200], s[12:13], v[163:164]
	;; [unrolled: 1-line block ×4, first 2 shown]
	v_add_f64_e32 v[0:1], v[0:1], v[14:15]
	v_add_f64_e32 v[115:116], v[88:89], v[56:57]
	;; [unrolled: 1-line block ×7, first 2 shown]
	v_mul_f64_e32 v[66:67], s[18:19], v[54:55]
	v_mul_f64_e32 v[68:69], s[16:17], v[54:55]
	;; [unrolled: 1-line block ×5, first 2 shown]
	v_add_f64_e32 v[2:3], v[2:3], v[4:5]
	v_add_f64_e32 v[0:1], v[0:1], v[96:97]
	v_fma_f64 v[76:77], v[74:75], s[36:37], v[66:67]
	v_fma_f64 v[66:67], v[74:75], s[22:23], v[66:67]
	;; [unrolled: 1-line block ×10, first 2 shown]
	v_add_f64_e32 v[74:75], v[88:89], v[50:51]
	v_fma_f64 v[50:51], v[129:130], s[8:9], v[171:172]
	v_add_f64_e32 v[2:3], v[2:3], v[12:13]
	v_add_f64_e32 v[0:1], v[0:1], v[105:106]
	;; [unrolled: 1-line block ×12, first 2 shown]
	v_fma_f64 v[44:45], v[121:122], s[16:17], -v[123:124]
	v_fma_f64 v[48:49], v[135:136], s[14:15], -v[137:138]
	v_fma_f64 v[52:53], v[135:136], s[2:3], v[173:174]
	v_add_f64_e32 v[72:73], v[90:91], v[72:73]
	v_add_f64_e32 v[113:114], v[90:91], v[113:114]
	;; [unrolled: 1-line block ×3, first 2 shown]
	v_fma_f64 v[54:55], v[129:130], s[24:25], v[187:188]
	v_add_f64_e32 v[2:3], v[2:3], v[98:99]
	v_add_f64_e32 v[0:1], v[0:1], v[109:110]
	;; [unrolled: 1-line block ×3, first 2 shown]
	v_mul_f64_e32 v[66:67], s[36:37], v[119:120]
	v_add_f64_e32 v[44:45], v[44:45], v[46:47]
	v_fma_f64 v[46:47], v[129:130], s[28:29], v[131:132]
	v_add_f64_e32 v[54:55], v[54:55], v[68:69]
	v_mul_f64_e32 v[68:69], s[34:35], v[119:120]
	v_add_f64_e32 v[2:3], v[2:3], v[107:108]
	v_add_f64_e32 v[0:1], v[0:1], v[101:102]
	;; [unrolled: 1-line block ×4, first 2 shown]
	v_fma_f64 v[48:49], v[141:142], s[26:27], v[143:144]
	v_fma_f64 v[56:57], v[135:136], s[16:17], v[189:190]
	v_add_f64_e32 v[2:3], v[2:3], v[111:112]
	v_add_f64_e32 v[0:1], v[0:1], v[94:95]
	s_delay_alu instid0(VALU_DEP_4) | instskip(SKIP_1) | instid1(VALU_DEP_4)
	v_add_f64_e32 v[46:47], v[48:49], v[46:47]
	v_fma_f64 v[48:49], v[147:148], s[12:13], -v[149:150]
	v_add_f64_e32 v[2:3], v[2:3], v[103:104]
	s_delay_alu instid0(VALU_DEP_4) | instskip(NEXT) | instid1(VALU_DEP_3)
	v_add_f64_e32 v[0:1], v[0:1], v[86:87]
	v_add_f64_e32 v[44:45], v[48:49], v[44:45]
	v_fma_f64 v[48:49], v[153:154], s[20:21], v[155:156]
	s_delay_alu instid0(VALU_DEP_4) | instskip(NEXT) | instid1(VALU_DEP_2)
	v_add_f64_e32 v[2:3], v[2:3], v[92:93]
	v_add_f64_e32 v[46:47], v[48:49], v[46:47]
	v_fma_f64 v[48:49], v[159:160], s[2:3], -v[161:162]
	s_delay_alu instid0(VALU_DEP_3) | instskip(SKIP_1) | instid1(VALU_DEP_3)
	v_add_f64_e32 v[2:3], v[2:3], v[84:85]
	v_add_f64_e32 v[84:85], v[0:1], v[10:11]
	;; [unrolled: 1-line block ×3, first 2 shown]
	v_fma_f64 v[48:49], v[165:166], s[24:25], v[167:168]
	s_delay_alu instid0(VALU_DEP_4) | instskip(NEXT) | instid1(VALU_DEP_2)
	v_add_f64_e32 v[86:87], v[2:3], v[8:9]
	v_add_f64_e32 v[46:47], v[48:49], v[46:47]
	v_fma_f64 v[48:49], v[121:122], s[12:13], v[169:170]
	s_delay_alu instid0(VALU_DEP_1) | instskip(SKIP_1) | instid1(VALU_DEP_2)
	v_add_f64_e32 v[48:49], v[48:49], v[58:59]
	v_fma_f64 v[58:59], v[129:130], s[26:27], v[201:202]
	v_add_f64_e32 v[48:49], v[52:53], v[48:49]
	v_fma_f64 v[52:53], v[141:142], s[24:25], v[175:176]
	s_delay_alu instid0(VALU_DEP_3) | instskip(SKIP_1) | instid1(VALU_DEP_3)
	v_add_f64_e32 v[58:59], v[58:59], v[70:71]
	v_mul_f64_e32 v[70:71], s[22:23], v[133:134]
	v_add_f64_e32 v[50:51], v[52:53], v[50:51]
	v_fma_f64 v[52:53], v[147:148], s[14:15], v[177:178]
	s_delay_alu instid0(VALU_DEP_1) | instskip(SKIP_1) | instid1(VALU_DEP_1)
	v_add_f64_e32 v[48:49], v[52:53], v[48:49]
	v_fma_f64 v[52:53], v[153:154], s[26:27], v[179:180]
	v_add_f64_e32 v[50:51], v[52:53], v[50:51]
	v_fma_f64 v[52:53], v[159:160], s[18:19], v[181:182]
	s_delay_alu instid0(VALU_DEP_1) | instskip(SKIP_1) | instid1(VALU_DEP_1)
	v_add_f64_e32 v[48:49], v[52:53], v[48:49]
	v_fma_f64 v[52:53], v[165:166], s[22:23], v[183:184]
	v_add_f64_e32 v[50:51], v[52:53], v[50:51]
	v_fma_f64 v[52:53], v[121:122], s[2:3], v[185:186]
	s_delay_alu instid0(VALU_DEP_1) | instskip(SKIP_2) | instid1(VALU_DEP_3)
	v_add_f64_e32 v[52:53], v[52:53], v[60:61]
	v_fma_f64 v[60:61], v[135:136], s[18:19], v[70:71]
	v_fma_f64 v[70:71], v[135:136], s[18:19], -v[70:71]
	v_add_f64_e32 v[52:53], v[56:57], v[52:53]
	v_fma_f64 v[56:57], v[141:142], s[28:29], v[191:192]
	s_delay_alu instid0(VALU_DEP_1) | instskip(SKIP_1) | instid1(VALU_DEP_1)
	v_add_f64_e32 v[54:55], v[56:57], v[54:55]
	v_fma_f64 v[56:57], v[147:148], s[18:19], v[193:194]
	v_add_f64_e32 v[52:53], v[56:57], v[52:53]
	v_fma_f64 v[56:57], v[153:154], s[36:37], v[195:196]
	s_delay_alu instid0(VALU_DEP_1) | instskip(SKIP_1) | instid1(VALU_DEP_1)
	v_add_f64_e32 v[54:55], v[56:57], v[54:55]
	v_fma_f64 v[56:57], v[159:160], s[12:13], v[197:198]
	v_add_f64_e32 v[52:53], v[56:57], v[52:53]
	v_fma_f64 v[56:57], v[165:166], s[8:9], v[199:200]
	s_delay_alu instid0(VALU_DEP_1) | instskip(SKIP_2) | instid1(VALU_DEP_2)
	v_add_f64_e32 v[54:55], v[56:57], v[54:55]
	v_fma_f64 v[56:57], v[121:122], s[14:15], v[68:69]
	v_fma_f64 v[68:69], v[121:122], s[14:15], -v[68:69]
	v_add_f64_e32 v[56:57], v[56:57], v[62:63]
	s_delay_alu instid0(VALU_DEP_2) | instskip(SKIP_1) | instid1(VALU_DEP_3)
	v_add_f64_e32 v[68:69], v[68:69], v[82:83]
	v_fma_f64 v[82:83], v[129:130], s[34:35], v[201:202]
	v_add_f64_e32 v[56:57], v[60:61], v[56:57]
	s_delay_alu instid0(VALU_DEP_3) | instskip(NEXT) | instid1(VALU_DEP_3)
	v_add_f64_e32 v[68:69], v[70:71], v[68:69]
	v_add_f64_e32 v[72:73], v[82:83], v[72:73]
	v_fma_f64 v[70:71], v[141:142], s[22:23], v[203:204]
	v_fma_f64 v[60:61], v[141:142], s[36:37], v[203:204]
	;; [unrolled: 1-line block ×3, first 2 shown]
	s_delay_alu instid0(VALU_DEP_3) | instskip(SKIP_1) | instid1(VALU_DEP_4)
	v_add_f64_e32 v[70:71], v[70:71], v[72:73]
	v_fma_f64 v[72:73], v[147:148], s[2:3], -v[205:206]
	v_add_f64_e32 v[58:59], v[60:61], v[58:59]
	v_fma_f64 v[60:61], v[147:148], s[2:3], v[205:206]
	s_delay_alu instid0(VALU_DEP_3) | instskip(SKIP_1) | instid1(VALU_DEP_3)
	v_add_f64_e32 v[68:69], v[72:73], v[68:69]
	v_fma_f64 v[72:73], v[153:154], s[24:25], v[207:208]
	v_add_f64_e32 v[56:57], v[60:61], v[56:57]
	v_fma_f64 v[60:61], v[153:154], s[30:31], v[207:208]
	s_delay_alu instid0(VALU_DEP_3) | instskip(SKIP_1) | instid1(VALU_DEP_3)
	v_add_f64_e32 v[70:71], v[72:73], v[70:71]
	v_fma_f64 v[72:73], v[159:160], s[16:17], -v[209:210]
	v_add_f64_e32 v[58:59], v[60:61], v[58:59]
	v_fma_f64 v[60:61], v[159:160], s[16:17], v[209:210]
	s_delay_alu instid0(VALU_DEP_4) | instskip(NEXT) | instid1(VALU_DEP_4)
	v_add_f64_e32 v[70:71], v[82:83], v[70:71]
	v_add_f64_e32 v[68:69], v[72:73], v[68:69]
	v_fma_f64 v[72:73], v[121:122], s[2:3], -v[185:186]
	s_delay_alu instid0(VALU_DEP_4) | instskip(SKIP_2) | instid1(VALU_DEP_4)
	v_add_f64_e32 v[56:57], v[60:61], v[56:57]
	v_fma_f64 v[60:61], v[165:166], s[28:29], v[211:212]
	v_fma_f64 v[82:83], v[165:166], s[20:21], v[199:200]
	v_add_f64_e32 v[72:73], v[72:73], v[74:75]
	v_fma_f64 v[74:75], v[129:130], s[30:31], v[187:188]
	s_delay_alu instid0(VALU_DEP_4) | instskip(SKIP_2) | instid1(VALU_DEP_4)
	v_add_f64_e32 v[58:59], v[60:61], v[58:59]
	v_fma_f64 v[60:61], v[121:122], s[18:19], v[66:67]
	v_fma_f64 v[66:67], v[121:122], s[18:19], -v[66:67]
	v_add_f64_e32 v[74:75], v[74:75], v[80:81]
	v_fma_f64 v[80:81], v[135:136], s[16:17], -v[189:190]
	s_delay_alu instid0(VALU_DEP_4) | instskip(SKIP_2) | instid1(VALU_DEP_4)
	v_add_f64_e32 v[60:61], v[60:61], v[64:65]
	v_mul_f64_e32 v[64:65], s[18:19], v[127:128]
	v_add_f64_e32 v[66:67], v[66:67], v[88:89]
	v_add_f64_e32 v[72:73], v[80:81], v[72:73]
	v_fma_f64 v[80:81], v[141:142], s[38:39], v[191:192]
	s_delay_alu instid0(VALU_DEP_4) | instskip(SKIP_1) | instid1(VALU_DEP_3)
	v_fma_f64 v[62:63], v[129:130], s[22:23], v[64:65]
	v_fma_f64 v[64:65], v[129:130], s[36:37], v[64:65]
	v_add_f64_e32 v[74:75], v[80:81], v[74:75]
	v_fma_f64 v[80:81], v[147:148], s[18:19], -v[193:194]
	s_delay_alu instid0(VALU_DEP_4) | instskip(SKIP_2) | instid1(VALU_DEP_4)
	v_add_f64_e32 v[62:63], v[62:63], v[113:114]
	v_mul_f64_e32 v[113:114], s[20:21], v[133:134]
	v_add_f64_e32 v[64:65], v[64:65], v[90:91]
	v_add_f64_e32 v[72:73], v[80:81], v[72:73]
	v_fma_f64 v[80:81], v[153:154], s[22:23], v[195:196]
	s_delay_alu instid0(VALU_DEP_4) | instskip(SKIP_2) | instid1(VALU_DEP_4)
	v_fma_f64 v[119:120], v[135:136], s[12:13], v[113:114]
	v_fma_f64 v[88:89], v[135:136], s[12:13], -v[113:114]
	v_fma_f64 v[113:114], v[147:148], s[12:13], v[149:150]
	v_add_f64_e32 v[74:75], v[80:81], v[74:75]
	v_fma_f64 v[80:81], v[159:160], s[12:13], -v[197:198]
	v_add_f64_e32 v[60:61], v[119:120], v[60:61]
	v_mul_f64_e32 v[119:120], s[12:13], v[139:140]
	v_add_f64_e32 v[66:67], v[88:89], v[66:67]
	v_add_f64_e32 v[74:75], v[82:83], v[74:75]
	;; [unrolled: 1-line block ×3, first 2 shown]
	v_fma_f64 v[80:81], v[121:122], s[12:13], -v[169:170]
	v_fma_f64 v[127:128], v[141:142], s[8:9], v[119:120]
	v_fma_f64 v[88:89], v[141:142], s[20:21], v[119:120]
	v_fma_f64 v[82:83], v[165:166], s[36:37], v[183:184]
	s_delay_alu instid0(VALU_DEP_4)
	v_add_f64_e32 v[76:77], v[80:81], v[76:77]
	v_fma_f64 v[80:81], v[129:130], s[20:21], v[171:172]
	v_add_f64_e32 v[62:63], v[127:128], v[62:63]
	v_mul_f64_e32 v[127:128], s[38:39], v[145:146]
	v_add_f64_e32 v[64:65], v[88:89], v[64:65]
	v_mul_f64_e32 v[145:146], s[14:15], v[163:164]
	v_add_f64_e32 v[78:79], v[80:81], v[78:79]
	v_fma_f64 v[80:81], v[135:136], s[2:3], -v[173:174]
	v_fma_f64 v[133:134], v[147:148], s[16:17], v[127:128]
	v_fma_f64 v[88:89], v[147:148], s[16:17], -v[127:128]
	v_fma_f64 v[90:91], v[165:166], s[26:27], v[145:146]
	s_delay_alu instid0(VALU_DEP_4) | instskip(SKIP_4) | instid1(VALU_DEP_4)
	v_add_f64_e32 v[76:77], v[80:81], v[76:77]
	v_fma_f64 v[80:81], v[141:142], s[30:31], v[175:176]
	v_add_f64_e32 v[60:61], v[133:134], v[60:61]
	v_mul_f64_e32 v[133:134], s[16:17], v[151:152]
	v_add_f64_e32 v[66:67], v[88:89], v[66:67]
	v_add_f64_e32 v[78:79], v[80:81], v[78:79]
	v_fma_f64 v[80:81], v[147:148], s[14:15], -v[177:178]
	s_delay_alu instid0(VALU_DEP_4) | instskip(SKIP_1) | instid1(VALU_DEP_3)
	v_fma_f64 v[139:140], v[153:154], s[28:29], v[133:134]
	v_fma_f64 v[88:89], v[153:154], s[38:39], v[133:134]
	v_add_f64_e32 v[76:77], v[80:81], v[76:77]
	v_fma_f64 v[80:81], v[153:154], s[34:35], v[179:180]
	s_delay_alu instid0(VALU_DEP_4) | instskip(SKIP_2) | instid1(VALU_DEP_4)
	v_add_f64_e32 v[62:63], v[139:140], v[62:63]
	v_mul_f64_e32 v[139:140], s[26:27], v[157:158]
	v_add_f64_e32 v[88:89], v[88:89], v[64:65]
	v_add_f64_e32 v[78:79], v[80:81], v[78:79]
	v_fma_f64 v[80:81], v[159:160], s[18:19], -v[181:182]
	s_delay_alu instid0(VALU_DEP_4) | instskip(SKIP_1) | instid1(VALU_DEP_4)
	v_fma_f64 v[64:65], v[159:160], s[14:15], -v[139:140]
	v_fma_f64 v[151:152], v[159:160], s[14:15], v[139:140]
	v_add_f64_e32 v[78:79], v[82:83], v[78:79]
	s_delay_alu instid0(VALU_DEP_4)
	v_add_f64_e32 v[76:77], v[80:81], v[76:77]
	v_fma_f64 v[80:81], v[121:122], s[16:17], v[123:124]
	v_fma_f64 v[82:83], v[129:130], s[38:39], v[131:132]
	v_add_f64_e32 v[64:65], v[64:65], v[66:67]
	v_add_f64_e32 v[66:67], v[90:91], v[88:89]
	v_fma_f64 v[88:89], v[135:136], s[14:15], v[137:138]
	v_fma_f64 v[90:91], v[141:142], s[34:35], v[143:144]
	v_add_f64_e32 v[60:61], v[151:152], v[60:61]
	v_fma_f64 v[151:152], v[165:166], s[34:35], v[145:146]
	v_add_f64_e32 v[80:81], v[80:81], v[115:116]
	v_add_f64_e32 v[82:83], v[82:83], v[117:118]
	v_fma_f64 v[115:116], v[153:154], s[8:9], v[155:156]
	s_delay_alu instid0(VALU_DEP_4) | instskip(NEXT) | instid1(VALU_DEP_4)
	v_add_f64_e32 v[62:63], v[151:152], v[62:63]
	v_add_f64_e32 v[80:81], v[88:89], v[80:81]
	s_delay_alu instid0(VALU_DEP_4) | instskip(SKIP_3) | instid1(VALU_DEP_4)
	v_add_f64_e32 v[82:83], v[90:91], v[82:83]
	v_fma_f64 v[88:89], v[159:160], s[2:3], v[161:162]
	v_fma_f64 v[90:91], v[165:166], s[30:31], v[167:168]
	s_mul_u64 s[2:3], s[4:5], 0xb0
	v_add_f64_e32 v[80:81], v[113:114], v[80:81]
	s_delay_alu instid0(VALU_DEP_4) | instskip(NEXT) | instid1(VALU_DEP_2)
	v_add_f64_e32 v[82:83], v[115:116], v[82:83]
	v_add_f64_e32 v[80:81], v[88:89], v[80:81]
	s_delay_alu instid0(VALU_DEP_2)
	v_add_f64_e32 v[82:83], v[90:91], v[82:83]
	ds_store_b128 v126, v[48:51] offset:352
	ds_store_b128 v126, v[52:55] offset:528
	;; [unrolled: 1-line block ×10, first 2 shown]
	ds_store_b128 v126, v[84:87]
	global_wb scope:SCOPE_SE
	s_wait_dscnt 0x0
	s_barrier_signal -1
	s_barrier_wait -1
	global_inv scope:SCOPE_SE
	ds_load_b128 v[44:47], v126
	ds_load_b128 v[48:51], v126 offset:176
	scratch_load_b128 v[2:5], off, off th:TH_LOAD_LU ; 16-byte Folded Reload
	s_wait_loadcnt_dscnt 0x1
	v_mul_f64_e32 v[0:1], v[4:5], v[46:47]
	s_delay_alu instid0(VALU_DEP_1) | instskip(SKIP_1) | instid1(VALU_DEP_1)
	v_fma_f64 v[12:13], v[2:3], v[44:45], v[0:1]
	v_mul_f64_e32 v[0:1], v[4:5], v[44:45]
	v_fma_f64 v[14:15], v[2:3], v[46:47], -v[0:1]
	scratch_load_b128 v[2:5], off, off offset:32 th:TH_LOAD_LU ; 16-byte Folded Reload
	s_wait_loadcnt_dscnt 0x0
	v_mul_f64_e32 v[0:1], v[4:5], v[50:51]
	s_delay_alu instid0(VALU_DEP_1) | instskip(SKIP_1) | instid1(VALU_DEP_1)
	v_fma_f64 v[44:45], v[2:3], v[48:49], v[0:1]
	v_mul_f64_e32 v[0:1], v[4:5], v[48:49]
	v_fma_f64 v[46:47], v[2:3], v[50:51], -v[0:1]
	ds_load_b128 v[0:3], v126 offset:352
	ds_load_b128 v[8:11], v126 offset:528
	scratch_load_b128 v[50:53], off, off offset:16 th:TH_LOAD_LU ; 16-byte Folded Reload
	s_wait_loadcnt_dscnt 0x1
	v_mul_f64_e32 v[4:5], v[52:53], v[2:3]
	s_delay_alu instid0(VALU_DEP_1) | instskip(SKIP_1) | instid1(VALU_DEP_1)
	v_fma_f64 v[48:49], v[50:51], v[0:1], v[4:5]
	v_mul_f64_e32 v[0:1], v[52:53], v[0:1]
	v_fma_f64 v[50:51], v[50:51], v[2:3], -v[0:1]
	scratch_load_b128 v[2:5], off, off offset:48 th:TH_LOAD_LU ; 16-byte Folded Reload
	s_wait_loadcnt_dscnt 0x0
	v_mul_f64_e32 v[0:1], v[4:5], v[10:11]
	s_delay_alu instid0(VALU_DEP_1) | instskip(SKIP_1) | instid1(VALU_DEP_1)
	v_fma_f64 v[52:53], v[2:3], v[8:9], v[0:1]
	v_mul_f64_e32 v[0:1], v[4:5], v[8:9]
	v_fma_f64 v[8:9], v[2:3], v[10:11], -v[0:1]
	ds_load_b128 v[0:3], v126 offset:704
	ds_load_b128 v[4:7], v126 offset:880
	s_wait_dscnt 0x1
	v_mul_f64_e32 v[10:11], v[18:19], v[2:3]
	s_delay_alu instid0(VALU_DEP_1) | instskip(SKIP_1) | instid1(VALU_DEP_1)
	v_fma_f64 v[10:11], v[16:17], v[0:1], v[10:11]
	v_mul_f64_e32 v[0:1], v[18:19], v[0:1]
	v_fma_f64 v[16:17], v[16:17], v[2:3], -v[0:1]
	s_wait_dscnt 0x0
	v_mul_f64_e32 v[0:1], v[22:23], v[6:7]
	s_delay_alu instid0(VALU_DEP_1) | instskip(SKIP_1) | instid1(VALU_DEP_1)
	v_fma_f64 v[18:19], v[20:21], v[4:5], v[0:1]
	v_mul_f64_e32 v[0:1], v[22:23], v[4:5]
	v_fma_f64 v[20:21], v[20:21], v[6:7], -v[0:1]
	ds_load_b128 v[0:3], v126 offset:1056
	ds_load_b128 v[4:7], v126 offset:1232
	s_wait_dscnt 0x1
	v_mul_f64_e32 v[22:23], v[26:27], v[2:3]
	s_delay_alu instid0(VALU_DEP_1) | instskip(SKIP_1) | instid1(VALU_DEP_1)
	v_fma_f64 v[22:23], v[24:25], v[0:1], v[22:23]
	v_mul_f64_e32 v[0:1], v[26:27], v[0:1]
	v_fma_f64 v[24:25], v[24:25], v[2:3], -v[0:1]
	s_wait_dscnt 0x0
	;; [unrolled: 14-line block ×3, first 2 shown]
	v_mul_f64_e32 v[0:1], v[38:39], v[6:7]
	s_delay_alu instid0(VALU_DEP_1) | instskip(SKIP_1) | instid1(VALU_DEP_1)
	v_fma_f64 v[34:35], v[36:37], v[4:5], v[0:1]
	v_mul_f64_e32 v[0:1], v[38:39], v[4:5]
	v_fma_f64 v[36:37], v[36:37], v[6:7], -v[0:1]
	ds_load_b128 v[0:3], v126 offset:1760
	s_wait_dscnt 0x0
	v_mul_f64_e32 v[4:5], v[42:43], v[2:3]
	s_delay_alu instid0(VALU_DEP_1) | instskip(SKIP_1) | instid1(VALU_DEP_1)
	v_fma_f64 v[38:39], v[40:41], v[0:1], v[4:5]
	v_mul_f64_e32 v[0:1], v[42:43], v[0:1]
	v_fma_f64 v[40:41], v[40:41], v[2:3], -v[0:1]
	v_mad_co_u64_u32 v[0:1], null, s6, v100, 0
	s_delay_alu instid0(VALU_DEP_1) | instskip(SKIP_1) | instid1(VALU_DEP_2)
	v_mad_co_u64_u32 v[1:2], null, s7, v100, v[1:2]
	v_mad_co_u64_u32 v[2:3], null, s4, v125, 0
	v_lshlrev_b64_e32 v[0:1], 4, v[0:1]
	s_delay_alu instid0(VALU_DEP_2) | instskip(NEXT) | instid1(VALU_DEP_2)
	v_mad_co_u64_u32 v[3:4], null, s5, v125, v[3:4]
	v_add_co_u32 v4, vcc_lo, s0, v0
	s_wait_alu 0xfffd
	s_delay_alu instid0(VALU_DEP_3) | instskip(NEXT) | instid1(VALU_DEP_3)
	v_add_co_ci_u32_e32 v5, vcc_lo, s1, v1, vcc_lo
	v_lshlrev_b64_e32 v[0:1], 4, v[2:3]
	s_mov_b32 s0, 0x6be69c90
	s_mov_b32 s1, 0x3f80ecf5
	s_wait_alu 0xfffe
	v_mul_f64_e32 v[2:3], s[0:1], v[14:15]
	v_mul_f64_e32 v[6:7], s[0:1], v[50:51]
	v_add_co_u32 v42, vcc_lo, v4, v0
	s_wait_alu 0xfffd
	v_add_co_ci_u32_e32 v43, vcc_lo, v5, v1, vcc_lo
	v_mul_f64_e32 v[0:1], s[0:1], v[12:13]
	v_mul_f64_e32 v[4:5], s[0:1], v[48:49]
	v_add_co_u32 v12, vcc_lo, v42, s2
	s_wait_alu 0xfffd
	v_add_co_ci_u32_e32 v13, vcc_lo, s3, v43, vcc_lo
	v_mul_f64_e32 v[14:15], s[0:1], v[20:21]
	v_mul_f64_e32 v[20:21], s[0:1], v[26:27]
	;; [unrolled: 1-line block ×4, first 2 shown]
	global_store_b128 v[42:43], v[0:3], off
	v_mul_f64_e32 v[0:1], s[0:1], v[44:45]
	v_mul_f64_e32 v[2:3], s[0:1], v[46:47]
	v_add_co_u32 v42, vcc_lo, v12, s2
	s_wait_alu 0xfffd
	v_add_co_ci_u32_e32 v43, vcc_lo, s3, v13, vcc_lo
	s_delay_alu instid0(VALU_DEP_2) | instskip(SKIP_1) | instid1(VALU_DEP_2)
	v_add_co_u32 v44, vcc_lo, v42, s2
	s_wait_alu 0xfffd
	v_add_co_ci_u32_e32 v45, vcc_lo, s3, v43, vcc_lo
	global_store_b128 v[12:13], v[0:3], off
	v_mul_f64_e32 v[0:1], s[0:1], v[52:53]
	v_mul_f64_e32 v[2:3], s[0:1], v[8:9]
	;; [unrolled: 1-line block ×12, first 2 shown]
	v_add_co_u32 v36, vcc_lo, v44, s2
	s_wait_alu 0xfffd
	v_add_co_ci_u32_e32 v37, vcc_lo, s3, v45, vcc_lo
	global_store_b128 v[42:43], v[4:7], off
	v_add_co_u32 v38, vcc_lo, v36, s2
	s_wait_alu 0xfffd
	v_add_co_ci_u32_e32 v39, vcc_lo, s3, v37, vcc_lo
	s_delay_alu instid0(VALU_DEP_2) | instskip(SKIP_1) | instid1(VALU_DEP_2)
	v_add_co_u32 v4, vcc_lo, v38, s2
	s_wait_alu 0xfffd
	v_add_co_ci_u32_e32 v5, vcc_lo, s3, v39, vcc_lo
	s_delay_alu instid0(VALU_DEP_2) | instskip(SKIP_1) | instid1(VALU_DEP_2)
	;; [unrolled: 4-line block ×3, first 2 shown]
	v_add_co_u32 v40, vcc_lo, v6, s2
	s_wait_alu 0xfffd
	v_add_co_ci_u32_e32 v41, vcc_lo, s3, v7, vcc_lo
	global_store_b128 v[44:45], v[0:3], off
	v_add_co_u32 v0, vcc_lo, v40, s2
	s_wait_alu 0xfffd
	v_add_co_ci_u32_e32 v1, vcc_lo, s3, v41, vcc_lo
	s_delay_alu instid0(VALU_DEP_2) | instskip(SKIP_1) | instid1(VALU_DEP_2)
	v_add_co_u32 v2, vcc_lo, v0, s2
	s_wait_alu 0xfffd
	v_add_co_ci_u32_e32 v3, vcc_lo, s3, v1, vcc_lo
	global_store_b128 v[36:37], v[8:11], off
	global_store_b128 v[38:39], v[12:15], off
	;; [unrolled: 1-line block ×7, first 2 shown]
.LBB0_2:
	s_nop 0
	s_sendmsg sendmsg(MSG_DEALLOC_VGPRS)
	s_endpgm
	.section	.rodata,"a",@progbits
	.p2align	6, 0x0
	.amdhsa_kernel bluestein_single_back_len121_dim1_dp_op_CI_CI
		.amdhsa_group_segment_fixed_size 21296
		.amdhsa_private_segment_fixed_size 68
		.amdhsa_kernarg_size 104
		.amdhsa_user_sgpr_count 2
		.amdhsa_user_sgpr_dispatch_ptr 0
		.amdhsa_user_sgpr_queue_ptr 0
		.amdhsa_user_sgpr_kernarg_segment_ptr 1
		.amdhsa_user_sgpr_dispatch_id 0
		.amdhsa_user_sgpr_private_segment_size 0
		.amdhsa_wavefront_size32 1
		.amdhsa_uses_dynamic_stack 0
		.amdhsa_enable_private_segment 1
		.amdhsa_system_sgpr_workgroup_id_x 1
		.amdhsa_system_sgpr_workgroup_id_y 0
		.amdhsa_system_sgpr_workgroup_id_z 0
		.amdhsa_system_sgpr_workgroup_info 0
		.amdhsa_system_vgpr_workitem_id 0
		.amdhsa_next_free_vgpr 256
		.amdhsa_next_free_sgpr 40
		.amdhsa_reserve_vcc 1
		.amdhsa_float_round_mode_32 0
		.amdhsa_float_round_mode_16_64 0
		.amdhsa_float_denorm_mode_32 3
		.amdhsa_float_denorm_mode_16_64 3
		.amdhsa_fp16_overflow 0
		.amdhsa_workgroup_processor_mode 1
		.amdhsa_memory_ordered 1
		.amdhsa_forward_progress 0
		.amdhsa_round_robin_scheduling 0
		.amdhsa_exception_fp_ieee_invalid_op 0
		.amdhsa_exception_fp_denorm_src 0
		.amdhsa_exception_fp_ieee_div_zero 0
		.amdhsa_exception_fp_ieee_overflow 0
		.amdhsa_exception_fp_ieee_underflow 0
		.amdhsa_exception_fp_ieee_inexact 0
		.amdhsa_exception_int_div_zero 0
	.end_amdhsa_kernel
	.text
.Lfunc_end0:
	.size	bluestein_single_back_len121_dim1_dp_op_CI_CI, .Lfunc_end0-bluestein_single_back_len121_dim1_dp_op_CI_CI
                                        ; -- End function
	.section	.AMDGPU.csdata,"",@progbits
; Kernel info:
; codeLenInByte = 12108
; NumSgprs: 42
; NumVgprs: 256
; ScratchSize: 68
; MemoryBound: 0
; FloatMode: 240
; IeeeMode: 1
; LDSByteSize: 21296 bytes/workgroup (compile time only)
; SGPRBlocks: 5
; VGPRBlocks: 31
; NumSGPRsForWavesPerEU: 42
; NumVGPRsForWavesPerEU: 256
; Occupancy: 5
; WaveLimiterHint : 1
; COMPUTE_PGM_RSRC2:SCRATCH_EN: 1
; COMPUTE_PGM_RSRC2:USER_SGPR: 2
; COMPUTE_PGM_RSRC2:TRAP_HANDLER: 0
; COMPUTE_PGM_RSRC2:TGID_X_EN: 1
; COMPUTE_PGM_RSRC2:TGID_Y_EN: 0
; COMPUTE_PGM_RSRC2:TGID_Z_EN: 0
; COMPUTE_PGM_RSRC2:TIDIG_COMP_CNT: 0
	.text
	.p2alignl 7, 3214868480
	.fill 96, 4, 3214868480
	.type	__hip_cuid_c519d85f63c63dea,@object ; @__hip_cuid_c519d85f63c63dea
	.section	.bss,"aw",@nobits
	.globl	__hip_cuid_c519d85f63c63dea
__hip_cuid_c519d85f63c63dea:
	.byte	0                               ; 0x0
	.size	__hip_cuid_c519d85f63c63dea, 1

	.ident	"AMD clang version 19.0.0git (https://github.com/RadeonOpenCompute/llvm-project roc-6.4.0 25133 c7fe45cf4b819c5991fe208aaa96edf142730f1d)"
	.section	".note.GNU-stack","",@progbits
	.addrsig
	.addrsig_sym __hip_cuid_c519d85f63c63dea
	.amdgpu_metadata
---
amdhsa.kernels:
  - .args:
      - .actual_access:  read_only
        .address_space:  global
        .offset:         0
        .size:           8
        .value_kind:     global_buffer
      - .actual_access:  read_only
        .address_space:  global
        .offset:         8
        .size:           8
        .value_kind:     global_buffer
      - .actual_access:  read_only
        .address_space:  global
        .offset:         16
        .size:           8
        .value_kind:     global_buffer
      - .actual_access:  read_only
        .address_space:  global
        .offset:         24
        .size:           8
        .value_kind:     global_buffer
      - .actual_access:  read_only
        .address_space:  global
        .offset:         32
        .size:           8
        .value_kind:     global_buffer
      - .offset:         40
        .size:           8
        .value_kind:     by_value
      - .address_space:  global
        .offset:         48
        .size:           8
        .value_kind:     global_buffer
      - .address_space:  global
        .offset:         56
        .size:           8
        .value_kind:     global_buffer
      - .address_space:  global
        .offset:         64
        .size:           8
        .value_kind:     global_buffer
      - .address_space:  global
        .offset:         72
        .size:           8
        .value_kind:     global_buffer
      - .offset:         80
        .size:           4
        .value_kind:     by_value
      - .address_space:  global
        .offset:         88
        .size:           8
        .value_kind:     global_buffer
      - .address_space:  global
        .offset:         96
        .size:           8
        .value_kind:     global_buffer
    .group_segment_fixed_size: 21296
    .kernarg_segment_align: 8
    .kernarg_segment_size: 104
    .language:       OpenCL C
    .language_version:
      - 2
      - 0
    .max_flat_workgroup_size: 121
    .name:           bluestein_single_back_len121_dim1_dp_op_CI_CI
    .private_segment_fixed_size: 68
    .sgpr_count:     42
    .sgpr_spill_count: 0
    .symbol:         bluestein_single_back_len121_dim1_dp_op_CI_CI.kd
    .uniform_work_group_size: 1
    .uses_dynamic_stack: false
    .vgpr_count:     256
    .vgpr_spill_count: 16
    .wavefront_size: 32
    .workgroup_processor_mode: 1
amdhsa.target:   amdgcn-amd-amdhsa--gfx1201
amdhsa.version:
  - 1
  - 2
...

	.end_amdgpu_metadata
